;; amdgpu-corpus repo=ROCm/rocFFT kind=compiled arch=gfx906 opt=O3
	.text
	.amdgcn_target "amdgcn-amd-amdhsa--gfx906"
	.amdhsa_code_object_version 6
	.protected	fft_rtc_fwd_len1352_factors_2_13_13_4_wgs_52_tpt_52_halfLds_sp_op_CI_CI_unitstride_sbrr_dirReg ; -- Begin function fft_rtc_fwd_len1352_factors_2_13_13_4_wgs_52_tpt_52_halfLds_sp_op_CI_CI_unitstride_sbrr_dirReg
	.globl	fft_rtc_fwd_len1352_factors_2_13_13_4_wgs_52_tpt_52_halfLds_sp_op_CI_CI_unitstride_sbrr_dirReg
	.p2align	8
	.type	fft_rtc_fwd_len1352_factors_2_13_13_4_wgs_52_tpt_52_halfLds_sp_op_CI_CI_unitstride_sbrr_dirReg,@function
fft_rtc_fwd_len1352_factors_2_13_13_4_wgs_52_tpt_52_halfLds_sp_op_CI_CI_unitstride_sbrr_dirReg: ; @fft_rtc_fwd_len1352_factors_2_13_13_4_wgs_52_tpt_52_halfLds_sp_op_CI_CI_unitstride_sbrr_dirReg
; %bb.0:
	s_load_dwordx4 s[12:15], s[4:5], 0x58
	s_load_dwordx4 s[8:11], s[4:5], 0x0
	;; [unrolled: 1-line block ×3, first 2 shown]
	v_mul_u32_u24_e32 v1, 0x4ed, v0
	v_mov_b32_e32 v7, 0
	v_mov_b32_e32 v5, 0
	s_waitcnt lgkmcnt(0)
	v_cmp_lt_u64_e64 s[0:1], s[10:11], 2
	v_add_u32_sdwa v9, s6, v1 dst_sel:DWORD dst_unused:UNUSED_PAD src0_sel:DWORD src1_sel:WORD_1
	v_mov_b32_e32 v10, v7
	s_and_b64 vcc, exec, s[0:1]
	v_mov_b32_e32 v6, 0
	s_cbranch_vccnz .LBB0_8
; %bb.1:
	s_load_dwordx2 s[0:1], s[4:5], 0x10
	s_add_u32 s2, s18, 8
	s_addc_u32 s3, s19, 0
	s_add_u32 s6, s16, 8
	s_addc_u32 s7, s17, 0
	v_mov_b32_e32 v5, 0
	s_waitcnt lgkmcnt(0)
	s_add_u32 s20, s0, 8
	v_mov_b32_e32 v6, 0
	v_mov_b32_e32 v1, v5
	s_addc_u32 s21, s1, 0
	s_mov_b64 s[22:23], 1
	v_mov_b32_e32 v2, v6
.LBB0_2:                                ; =>This Inner Loop Header: Depth=1
	s_load_dwordx2 s[24:25], s[20:21], 0x0
                                        ; implicit-def: $vgpr3_vgpr4
	s_waitcnt lgkmcnt(0)
	v_or_b32_e32 v8, s25, v10
	v_cmp_ne_u64_e32 vcc, 0, v[7:8]
	s_and_saveexec_b64 s[0:1], vcc
	s_xor_b64 s[26:27], exec, s[0:1]
	s_cbranch_execz .LBB0_4
; %bb.3:                                ;   in Loop: Header=BB0_2 Depth=1
	v_cvt_f32_u32_e32 v3, s24
	v_cvt_f32_u32_e32 v4, s25
	s_sub_u32 s0, 0, s24
	s_subb_u32 s1, 0, s25
	v_mac_f32_e32 v3, 0x4f800000, v4
	v_rcp_f32_e32 v3, v3
	v_mul_f32_e32 v3, 0x5f7ffffc, v3
	v_mul_f32_e32 v4, 0x2f800000, v3
	v_trunc_f32_e32 v4, v4
	v_mac_f32_e32 v3, 0xcf800000, v4
	v_cvt_u32_f32_e32 v4, v4
	v_cvt_u32_f32_e32 v3, v3
	v_mul_lo_u32 v8, s0, v4
	v_mul_hi_u32 v11, s0, v3
	v_mul_lo_u32 v13, s1, v3
	v_mul_lo_u32 v12, s0, v3
	v_add_u32_e32 v8, v11, v8
	v_add_u32_e32 v8, v8, v13
	v_mul_hi_u32 v11, v3, v12
	v_mul_lo_u32 v13, v3, v8
	v_mul_hi_u32 v15, v3, v8
	v_mul_hi_u32 v14, v4, v12
	v_mul_lo_u32 v12, v4, v12
	v_mul_hi_u32 v16, v4, v8
	v_add_co_u32_e32 v11, vcc, v11, v13
	v_addc_co_u32_e32 v13, vcc, 0, v15, vcc
	v_mul_lo_u32 v8, v4, v8
	v_add_co_u32_e32 v11, vcc, v11, v12
	v_addc_co_u32_e32 v11, vcc, v13, v14, vcc
	v_addc_co_u32_e32 v12, vcc, 0, v16, vcc
	v_add_co_u32_e32 v8, vcc, v11, v8
	v_addc_co_u32_e32 v11, vcc, 0, v12, vcc
	v_add_co_u32_e32 v3, vcc, v3, v8
	v_addc_co_u32_e32 v4, vcc, v4, v11, vcc
	v_mul_lo_u32 v8, s0, v4
	v_mul_hi_u32 v11, s0, v3
	v_mul_lo_u32 v12, s1, v3
	v_mul_lo_u32 v13, s0, v3
	v_add_u32_e32 v8, v11, v8
	v_add_u32_e32 v8, v8, v12
	v_mul_lo_u32 v14, v3, v8
	v_mul_hi_u32 v15, v3, v13
	v_mul_hi_u32 v16, v3, v8
	v_mul_hi_u32 v12, v4, v13
	v_mul_lo_u32 v13, v4, v13
	v_mul_hi_u32 v11, v4, v8
	v_add_co_u32_e32 v14, vcc, v15, v14
	v_addc_co_u32_e32 v15, vcc, 0, v16, vcc
	v_mul_lo_u32 v8, v4, v8
	v_add_co_u32_e32 v13, vcc, v14, v13
	v_addc_co_u32_e32 v12, vcc, v15, v12, vcc
	v_addc_co_u32_e32 v11, vcc, 0, v11, vcc
	v_add_co_u32_e32 v8, vcc, v12, v8
	v_addc_co_u32_e32 v11, vcc, 0, v11, vcc
	v_add_co_u32_e32 v8, vcc, v3, v8
	v_addc_co_u32_e32 v11, vcc, v4, v11, vcc
	v_mad_u64_u32 v[3:4], s[0:1], v9, v11, 0
	v_mul_hi_u32 v12, v9, v8
	v_add_co_u32_e32 v13, vcc, v12, v3
	v_addc_co_u32_e32 v14, vcc, 0, v4, vcc
	v_mad_u64_u32 v[3:4], s[0:1], v10, v8, 0
	v_mad_u64_u32 v[11:12], s[0:1], v10, v11, 0
	v_add_co_u32_e32 v3, vcc, v13, v3
	v_addc_co_u32_e32 v3, vcc, v14, v4, vcc
	v_addc_co_u32_e32 v4, vcc, 0, v12, vcc
	v_add_co_u32_e32 v8, vcc, v3, v11
	v_addc_co_u32_e32 v11, vcc, 0, v4, vcc
	v_mul_lo_u32 v12, s25, v8
	v_mul_lo_u32 v13, s24, v11
	v_mad_u64_u32 v[3:4], s[0:1], s24, v8, 0
	v_add3_u32 v4, v4, v13, v12
	v_sub_u32_e32 v12, v10, v4
	v_mov_b32_e32 v13, s25
	v_sub_co_u32_e32 v3, vcc, v9, v3
	v_subb_co_u32_e64 v12, s[0:1], v12, v13, vcc
	v_subrev_co_u32_e64 v13, s[0:1], s24, v3
	v_subbrev_co_u32_e64 v12, s[0:1], 0, v12, s[0:1]
	v_cmp_le_u32_e64 s[0:1], s25, v12
	v_cndmask_b32_e64 v14, 0, -1, s[0:1]
	v_cmp_le_u32_e64 s[0:1], s24, v13
	v_cndmask_b32_e64 v13, 0, -1, s[0:1]
	v_cmp_eq_u32_e64 s[0:1], s25, v12
	v_cndmask_b32_e64 v12, v14, v13, s[0:1]
	v_add_co_u32_e64 v13, s[0:1], 2, v8
	v_addc_co_u32_e64 v14, s[0:1], 0, v11, s[0:1]
	v_add_co_u32_e64 v15, s[0:1], 1, v8
	v_addc_co_u32_e64 v16, s[0:1], 0, v11, s[0:1]
	v_subb_co_u32_e32 v4, vcc, v10, v4, vcc
	v_cmp_ne_u32_e64 s[0:1], 0, v12
	v_cmp_le_u32_e32 vcc, s25, v4
	v_cndmask_b32_e64 v12, v16, v14, s[0:1]
	v_cndmask_b32_e64 v14, 0, -1, vcc
	v_cmp_le_u32_e32 vcc, s24, v3
	v_cndmask_b32_e64 v3, 0, -1, vcc
	v_cmp_eq_u32_e32 vcc, s25, v4
	v_cndmask_b32_e32 v3, v14, v3, vcc
	v_cmp_ne_u32_e32 vcc, 0, v3
	v_cndmask_b32_e64 v3, v15, v13, s[0:1]
	v_cndmask_b32_e32 v4, v11, v12, vcc
	v_cndmask_b32_e32 v3, v8, v3, vcc
.LBB0_4:                                ;   in Loop: Header=BB0_2 Depth=1
	s_andn2_saveexec_b64 s[0:1], s[26:27]
	s_cbranch_execz .LBB0_6
; %bb.5:                                ;   in Loop: Header=BB0_2 Depth=1
	v_cvt_f32_u32_e32 v3, s24
	s_sub_i32 s26, 0, s24
	v_rcp_iflag_f32_e32 v3, v3
	v_mul_f32_e32 v3, 0x4f7ffffe, v3
	v_cvt_u32_f32_e32 v3, v3
	v_mul_lo_u32 v4, s26, v3
	v_mul_hi_u32 v4, v3, v4
	v_add_u32_e32 v3, v3, v4
	v_mul_hi_u32 v3, v9, v3
	v_mul_lo_u32 v4, v3, s24
	v_add_u32_e32 v8, 1, v3
	v_sub_u32_e32 v4, v9, v4
	v_subrev_u32_e32 v11, s24, v4
	v_cmp_le_u32_e32 vcc, s24, v4
	v_cndmask_b32_e32 v4, v4, v11, vcc
	v_cndmask_b32_e32 v3, v3, v8, vcc
	v_add_u32_e32 v8, 1, v3
	v_cmp_le_u32_e32 vcc, s24, v4
	v_cndmask_b32_e32 v3, v3, v8, vcc
	v_mov_b32_e32 v4, v7
.LBB0_6:                                ;   in Loop: Header=BB0_2 Depth=1
	s_or_b64 exec, exec, s[0:1]
	v_mul_lo_u32 v8, v4, s24
	v_mul_lo_u32 v13, v3, s25
	v_mad_u64_u32 v[11:12], s[0:1], v3, s24, 0
	s_load_dwordx2 s[0:1], s[6:7], 0x0
	s_load_dwordx2 s[24:25], s[2:3], 0x0
	v_add3_u32 v8, v12, v13, v8
	v_sub_co_u32_e32 v9, vcc, v9, v11
	v_subb_co_u32_e32 v8, vcc, v10, v8, vcc
	s_waitcnt lgkmcnt(0)
	v_mul_lo_u32 v10, s0, v8
	v_mul_lo_u32 v11, s1, v9
	v_mad_u64_u32 v[5:6], s[0:1], s0, v9, v[5:6]
	v_mul_lo_u32 v8, s24, v8
	v_mul_lo_u32 v12, s25, v9
	v_mad_u64_u32 v[1:2], s[0:1], s24, v9, v[1:2]
	s_add_u32 s22, s22, 1
	s_addc_u32 s23, s23, 0
	s_add_u32 s2, s2, 8
	v_add3_u32 v2, v12, v2, v8
	s_addc_u32 s3, s3, 0
	v_mov_b32_e32 v8, s10
	s_add_u32 s6, s6, 8
	v_mov_b32_e32 v9, s11
	s_addc_u32 s7, s7, 0
	v_cmp_ge_u64_e32 vcc, s[22:23], v[8:9]
	s_add_u32 s20, s20, 8
	v_add3_u32 v6, v11, v6, v10
	s_addc_u32 s21, s21, 0
	s_cbranch_vccnz .LBB0_9
; %bb.7:                                ;   in Loop: Header=BB0_2 Depth=1
	v_mov_b32_e32 v10, v4
	v_mov_b32_e32 v9, v3
	s_branch .LBB0_2
.LBB0_8:
	v_mov_b32_e32 v1, v5
	v_mov_b32_e32 v3, v9
	;; [unrolled: 1-line block ×4, first 2 shown]
.LBB0_9:
	s_load_dwordx2 s[0:1], s[4:5], 0x28
	s_lshl_b64 s[6:7], s[10:11], 3
	s_add_u32 s2, s18, s6
	s_addc_u32 s3, s19, s7
                                        ; implicit-def: $sgpr10_sgpr11
                                        ; implicit-def: $vgpr58
	s_waitcnt lgkmcnt(0)
	v_cmp_gt_u64_e32 vcc, s[0:1], v[3:4]
	v_cmp_le_u64_e64 s[0:1], s[0:1], v[3:4]
	s_and_saveexec_b64 s[4:5], s[0:1]
	s_xor_b64 s[0:1], exec, s[4:5]
; %bb.10:
	s_mov_b32 s4, 0x4ec4ec5
	v_mul_hi_u32 v5, v0, s4
	s_mov_b64 s[10:11], 0
	v_mul_u32_u24_e32 v5, 52, v5
	v_sub_u32_e32 v58, v0, v5
                                        ; implicit-def: $vgpr0
                                        ; implicit-def: $vgpr5_vgpr6
; %bb.11:
	s_or_saveexec_b64 s[4:5], s[0:1]
	v_mov_b32_e32 v8, s10
	v_mov_b32_e32 v29, s11
	;; [unrolled: 1-line block ×26, first 2 shown]
                                        ; implicit-def: $vgpr47
                                        ; implicit-def: $vgpr41
                                        ; implicit-def: $vgpr7
                                        ; implicit-def: $vgpr11
                                        ; implicit-def: $vgpr13
                                        ; implicit-def: $vgpr23
                                        ; implicit-def: $vgpr19
                                        ; implicit-def: $vgpr17
                                        ; implicit-def: $vgpr15
                                        ; implicit-def: $vgpr43
                                        ; implicit-def: $vgpr53
                                        ; implicit-def: $vgpr27
                                        ; implicit-def: $vgpr37
	s_xor_b64 exec, exec, s[4:5]
	s_cbranch_execz .LBB0_13
; %bb.12:
	s_add_u32 s0, s16, s6
	s_addc_u32 s1, s17, s7
	s_load_dwordx2 s[0:1], s[0:1], 0x0
	s_mov_b32 s6, 0x4ec4ec5
	v_mul_hi_u32 v9, v0, s6
	v_lshlrev_b64 v[5:6], 3, v[5:6]
	s_waitcnt lgkmcnt(0)
	v_mul_lo_u32 v10, s1, v3
	v_mul_lo_u32 v11, s0, v4
	v_mad_u64_u32 v[7:8], s[0:1], s0, v3, 0
	v_mul_u32_u24_e32 v9, 52, v9
	v_sub_u32_e32 v58, v0, v9
	v_add3_u32 v8, v8, v11, v10
	v_lshlrev_b64 v[7:8], 3, v[7:8]
	v_mov_b32_e32 v0, s13
	v_add_co_u32_e64 v7, s[0:1], s12, v7
	v_addc_co_u32_e64 v0, s[0:1], v0, v8, s[0:1]
	v_add_co_u32_e64 v5, s[0:1], v7, v5
	v_addc_co_u32_e64 v0, s[0:1], v0, v6, s[0:1]
	v_lshlrev_b32_e32 v10, 3, v58
	v_add_co_u32_e64 v59, s[0:1], v5, v10
	v_addc_co_u32_e64 v60, s[0:1], 0, v0, s[0:1]
	s_movk_i32 s0, 0x1000
	v_add_co_u32_e64 v61, s[0:1], s0, v59
	v_addc_co_u32_e64 v62, s[0:1], 0, v60, s[0:1]
	v_or_b32_e32 v10, 0x1a00, v10
	v_add_co_u32_e64 v14, s[0:1], v5, v10
	v_addc_co_u32_e64 v15, s[0:1], 0, v0, s[0:1]
	s_movk_i32 s0, 0x2000
	v_add_co_u32_e64 v63, s[0:1], s0, v59
	global_load_dwordx2 v[6:7], v[61:62], off offset:2144
	global_load_dwordx2 v[8:9], v[59:60], off
	global_load_dwordx2 v[28:29], v[59:60], off offset:416
	global_load_dwordx2 v[24:25], v[59:60], off offset:832
	;; [unrolled: 1-line block ×5, first 2 shown]
	global_load_dwordx2 v[36:37], v[14:15], off
	global_load_dwordx2 v[12:13], v[61:62], off offset:3808
	global_load_dwordx2 v[38:39], v[59:60], off offset:1664
	;; [unrolled: 1-line block ×5, first 2 shown]
	v_addc_co_u32_e64 v64, s[0:1], 0, v60, s[0:1]
	global_load_dwordx2 v[44:45], v[59:60], off offset:3328
	global_load_dwordx2 v[48:49], v[59:60], off offset:3744
	;; [unrolled: 1-line block ×13, first 2 shown]
.LBB0_13:
	s_or_b64 exec, exec, s[4:5]
	s_waitcnt vmcnt(7)
	v_sub_f32_e32 v62, v9, v47
	v_sub_f32_e32 v64, v29, v41
	v_sub_f32_e32 v60, v8, v46
	v_fma_f32 v61, v9, 2.0, -v62
	v_sub_f32_e32 v9, v28, v40
	v_fma_f32 v63, v29, 2.0, -v64
	v_sub_f32_e32 v29, v25, v7
	v_sub_f32_e32 v37, v21, v37
	;; [unrolled: 1-line block ×5, first 2 shown]
	s_waitcnt vmcnt(5)
	v_sub_f32_e32 v23, v33, v23
	v_fma_f32 v59, v8, 2.0, -v60
	v_fma_f32 v8, v28, 2.0, -v9
	;; [unrolled: 1-line block ×3, first 2 shown]
	v_sub_f32_e32 v25, v20, v36
	v_fma_f32 v36, v21, 2.0, -v37
	v_sub_f32_e32 v21, v38, v10
	v_fma_f32 v10, v39, 2.0, -v11
	;; [unrolled: 2-line block ×5, first 2 shown]
	s_waitcnt vmcnt(4)
	v_sub_f32_e32 v19, v45, v19
	s_waitcnt vmcnt(3)
	v_sub_f32_e32 v17, v49, v17
	v_add_u32_e32 v33, 52, v58
	v_sub_f32_e32 v6, v24, v6
	v_sub_f32_e32 v41, v44, v18
	v_fma_f32 v18, v45, 2.0, -v19
	v_sub_f32_e32 v45, v48, v16
	v_fma_f32 v16, v49, 2.0, -v17
	s_waitcnt vmcnt(1)
	v_sub_f32_e32 v49, v54, v52
	v_lshl_add_u32 v7, v58, 3, 0
	v_lshl_add_u32 v65, v33, 3, 0
	s_load_dwordx2 s[4:5], s[2:3], 0x0
	v_fma_f32 v5, v24, 2.0, -v6
	v_fma_f32 v24, v20, 2.0, -v25
	v_fma_f32 v20, v38, 2.0, -v21
	v_fma_f32 v38, v34, 2.0, -v39
	v_fma_f32 v34, v30, 2.0, -v35
	v_fma_f32 v30, v32, 2.0, -v31
	v_fma_f32 v40, v44, 2.0, -v41
	v_fma_f32 v44, v48, 2.0, -v45
	v_sub_f32_e32 v47, v50, v14
	v_sub_f32_e32 v15, v51, v15
	;; [unrolled: 1-line block ×3, first 2 shown]
	v_fma_f32 v48, v54, 2.0, -v49
	s_waitcnt vmcnt(0)
	v_sub_f32_e32 v54, v56, v42
	ds_write_b64 v65, v[8:9]
	ds_write2_b64 v7, v[59:60], v[5:6] offset1:104
	ds_write2_b64 v7, v[24:25], v[20:21] offset0:156 offset1:208
	v_add_u32_e32 v59, 0x800, v7
	v_fma_f32 v46, v50, 2.0, -v47
	v_fma_f32 v14, v51, 2.0, -v15
	;; [unrolled: 1-line block ×3, first 2 shown]
	v_sub_f32_e32 v43, v57, v43
	v_fma_f32 v53, v56, 2.0, -v54
	v_add_u32_e32 v0, 0x104, v58
	v_add_u32_e32 v55, 0x138, v58
	ds_write2_b64 v59, v[30:31], v[40:41] offset0:108 offset1:160
	v_add_u32_e32 v30, 0xc00, v7
	v_add_u32_e32 v40, 0x1000, v7
	v_lshl_add_u32 v56, v58, 2, 0
	v_fma_f32 v42, v57, 2.0, -v43
	v_lshl_add_u32 v8, v0, 3, 0
	v_lshl_add_u32 v9, v55, 3, 0
	ds_write2_b64 v30, v[44:45], v[46:47] offset0:84 offset1:136
	ds_write2_b64 v40, v[48:49], v[53:54] offset0:60 offset1:112
	v_add_u32_e32 v47, 0x200, v56
	v_add_u32_e32 v41, 0x400, v56
	;; [unrolled: 1-line block ×7, first 2 shown]
	ds_write_b64 v8, v[38:39]
	ds_write_b64 v9, v[34:35]
	s_waitcnt lgkmcnt(0)
	; wave barrier
	s_waitcnt lgkmcnt(0)
	ds_read2_b32 v[5:6], v56 offset1:52
	ds_read2_b32 v[20:21], v56 offset0:104 offset1:156
	ds_read2_b32 v[24:25], v47 offset0:80 offset1:132
	;; [unrolled: 1-line block ×12, first 2 shown]
	s_waitcnt lgkmcnt(0)
	; wave barrier
	s_waitcnt lgkmcnt(0)
	ds_write_b64 v65, v[63:64]
	ds_write2_b64 v7, v[61:62], v[28:29] offset1:104
	ds_write2_b64 v7, v[36:37], v[10:11] offset0:156 offset1:208
	ds_write_b64 v8, v[26:27]
	ds_write_b64 v9, v[12:13]
	ds_write2_b64 v59, v[22:23], v[18:19] offset0:108 offset1:160
	ds_write2_b64 v30, v[16:17], v[14:15] offset0:84 offset1:136
	;; [unrolled: 1-line block ×3, first 2 shown]
	v_and_b32_e32 v7, 1, v58
	v_mul_u32_u24_e32 v8, 12, v7
	v_lshlrev_b32_e32 v22, 3, v8
	s_waitcnt lgkmcnt(0)
	; wave barrier
	s_waitcnt lgkmcnt(0)
	global_load_dwordx4 v[8:11], v22, s[8:9]
	global_load_dwordx4 v[12:15], v22, s[8:9] offset:16
	global_load_dwordx4 v[63:66], v22, s[8:9] offset:32
	;; [unrolled: 1-line block ×4, first 2 shown]
	ds_read2_b32 v[16:17], v56 offset0:104 offset1:156
	ds_read2_b32 v[18:19], v47 offset0:80 offset1:132
	ds_read2_b32 v[26:27], v41 offset0:56 offset1:108
	global_load_dwordx4 v[75:78], v22, s[8:9] offset:80
	s_mov_b32 s6, 0x3f62ad3f
	s_mov_b32 s7, 0x3f116cb1
	;; [unrolled: 1-line block ×6, first 2 shown]
	v_cmp_gt_u32_e64 s[0:1], 26, v58
	s_waitcnt vmcnt(5)
	v_mul_f32_e32 v51, v20, v9
	s_waitcnt lgkmcnt(2)
	v_mul_f32_e32 v23, v16, v9
	v_fmac_f32_e32 v51, v16, v8
	s_waitcnt lgkmcnt(1)
	v_mul_f32_e32 v16, v18, v11
	v_fma_f32 v45, v24, v10, -v16
	v_mul_f32_e32 v16, v17, v9
	v_mul_f32_e32 v60, v21, v9
	v_fma_f32 v61, v20, v8, -v23
	v_fma_f32 v62, v21, v8, -v16
	v_fmac_f32_e32 v60, v17, v8
	v_mul_f32_e32 v8, v19, v11
	v_fma_f32 v23, v25, v10, -v8
	ds_read2_b32 v[8:9], v41 offset0:160 offset1:212
	s_waitcnt vmcnt(4) lgkmcnt(1)
	v_mul_f32_e32 v16, v26, v13
	v_mul_f32_e32 v44, v24, v11
	v_fma_f32 v48, v34, v12, -v16
	v_mul_f32_e32 v22, v25, v11
	s_waitcnt lgkmcnt(0)
	v_mul_f32_e32 v16, v8, v15
	v_fmac_f32_e32 v44, v18, v10
	v_mul_f32_e32 v46, v34, v13
	v_fma_f32 v42, v38, v14, -v16
	v_mul_f32_e32 v16, v27, v13
	v_mul_f32_e32 v18, v35, v13
	v_fmac_f32_e32 v22, v19, v10
	v_fmac_f32_e32 v46, v26, v12
	v_fma_f32 v19, v35, v12, -v16
	v_mul_f32_e32 v43, v38, v15
	v_fmac_f32_e32 v18, v27, v12
	v_mul_f32_e32 v12, v9, v15
	v_mul_f32_e32 v16, v39, v15
	ds_read2_b32 v[10:11], v49 offset0:8 offset1:60
	v_fma_f32 v17, v39, v14, -v12
	v_fmac_f32_e32 v43, v8, v14
	v_fmac_f32_e32 v16, v9, v14
	ds_read2_b32 v[14:15], v32 offset0:88 offset1:140
	ds_read2_b32 v[20:21], v49 offset0:112 offset1:164
	;; [unrolled: 1-line block ×3, first 2 shown]
	s_waitcnt vmcnt(3)
	v_mul_f32_e32 v37, v53, v64
	s_waitcnt lgkmcnt(3)
	v_mul_f32_e32 v8, v10, v64
	v_fmac_f32_e32 v37, v10, v63
	s_waitcnt vmcnt(2) lgkmcnt(2)
	v_mul_f32_e32 v10, v14, v68
	v_fma_f32 v38, v53, v63, -v8
	s_waitcnt lgkmcnt(1)
	v_mul_f32_e32 v8, v20, v66
	v_mul_f32_e32 v12, v54, v64
	v_fma_f32 v35, v81, v67, -v10
	s_waitcnt lgkmcnt(0)
	v_mul_f32_e32 v10, v24, v70
	v_fma_f32 v26, v79, v65, -v8
	v_mul_f32_e32 v8, v11, v64
	v_fmac_f32_e32 v12, v11, v63
	v_mul_f32_e32 v34, v81, v68
	v_fma_f32 v39, v83, v69, -v10
	v_mul_f32_e32 v10, v15, v68
	v_mul_f32_e32 v11, v82, v68
	v_fma_f32 v13, v54, v63, -v8
	v_mul_f32_e32 v29, v79, v66
	v_mul_f32_e32 v8, v21, v66
	;; [unrolled: 1-line block ×3, first 2 shown]
	ds_read2_b32 v[27:28], v50 offset0:168 offset1:220
	v_fmac_f32_e32 v34, v14, v67
	v_fma_f32 v10, v82, v67, -v10
	v_mul_f32_e32 v40, v83, v70
	v_fmac_f32_e32 v11, v15, v67
	v_mul_f32_e32 v14, v25, v70
	v_mul_f32_e32 v15, v84, v70
	ds_read2_b32 v[66:67], v57 offset0:120 offset1:172
	v_fma_f32 v14, v84, v69, -v14
	ds_read2_b32 v[63:64], v57 offset0:16 offset1:68
	v_fmac_f32_e32 v40, v24, v69
	v_fmac_f32_e32 v15, v25, v69
	ds_read2_b32 v[68:69], v31 offset0:96 offset1:148
	s_waitcnt vmcnt(1)
	v_mul_f32_e32 v52, v85, v72
	v_fmac_f32_e32 v29, v20, v65
	s_waitcnt lgkmcnt(3)
	v_mul_f32_e32 v20, v27, v72
	v_fmac_f32_e32 v52, v27, v71
	v_mul_f32_e32 v59, v87, v74
	v_mul_f32_e32 v25, v88, v74
	s_waitcnt vmcnt(0) lgkmcnt(2)
	v_mul_f32_e32 v27, v66, v76
	v_fma_f32 v8, v80, v65, -v8
	v_fmac_f32_e32 v9, v21, v65
	v_fma_f32 v53, v85, v71, -v20
	s_waitcnt lgkmcnt(1)
	v_mul_f32_e32 v20, v63, v74
	v_mul_f32_e32 v24, v64, v74
	v_fmac_f32_e32 v59, v63, v73
	v_fmac_f32_e32 v25, v64, v73
	v_fma_f32 v64, v89, v75, -v27
	v_mul_f32_e32 v63, v89, v76
	s_waitcnt lgkmcnt(0)
	v_mul_f32_e32 v27, v68, v78
	v_mul_f32_e32 v65, v91, v78
	;; [unrolled: 1-line block ×3, first 2 shown]
	v_fmac_f32_e32 v63, v66, v75
	v_fma_f32 v66, v91, v77, -v27
	v_fmac_f32_e32 v65, v68, v77
	v_mul_f32_e32 v30, v69, v78
	v_fma_f32 v54, v87, v73, -v20
	v_mul_f32_e32 v20, v28, v72
	v_fmac_f32_e32 v21, v28, v71
	v_mul_f32_e32 v28, v90, v76
	v_fma_f32 v36, v92, v77, -v30
	v_mul_f32_e32 v30, v92, v78
	v_sub_f32_e32 v72, v51, v65
	v_sub_f32_e32 v81, v61, v66
	v_fma_f32 v20, v86, v71, -v20
	v_mul_f32_e32 v27, v67, v76
	v_fmac_f32_e32 v28, v67, v75
	v_fmac_f32_e32 v30, v69, v77
	v_add_f32_e32 v71, v61, v66
	v_mul_f32_e32 v67, 0xbeedf032, v72
	v_mul_f32_e32 v69, 0xbf52af12, v72
	v_mul_f32_e32 v82, 0xbf7e222b, v72
	v_mul_f32_e32 v84, 0xbf6f5d39, v72
	v_mul_f32_e32 v87, 0xbf29c268, v72
	v_mul_f32_e32 v89, 0xbe750f2a, v72
	v_mul_f32_e32 v72, 0xbeedf032, v81
	v_mul_f32_e32 v74, 0xbf52af12, v81
	v_mul_f32_e32 v76, 0xbf7e222b, v81
	v_mul_f32_e32 v78, 0xbf6f5d39, v81
	v_mul_f32_e32 v80, 0xbf29c268, v81
	v_mul_f32_e32 v91, 0xbe750f2a, v81
	v_fma_f32 v24, v88, v73, -v24
	v_fma_f32 v27, v90, v75, -v27
	;; [unrolled: 1-line block ×3, first 2 shown]
	v_fmac_f32_e32 v67, 0x3f62ad3f, v71
	v_fma_f32 v70, v71, s7, -v69
	v_fmac_f32_e32 v69, 0x3f116cb1, v71
	v_fma_f32 v83, v71, s10, -v82
	;; [unrolled: 2-line block ×5, first 2 shown]
	v_fmac_f32_e32 v89, 0xbf788fa5, v71
	v_add_f32_e32 v85, v51, v65
	v_mov_b32_e32 v71, v72
	v_mov_b32_e32 v73, v74
	;; [unrolled: 1-line block ×6, first 2 shown]
	v_sub_f32_e32 v92, v60, v30
	v_fmac_f32_e32 v71, 0x3f62ad3f, v85
	v_fma_f32 v72, v85, s6, -v72
	v_fmac_f32_e32 v73, 0x3f116cb1, v85
	v_fma_f32 v74, v85, s7, -v74
	;; [unrolled: 2-line block ×6, first 2 shown]
	v_add_f32_e32 v91, v62, v36
	v_mul_f32_e32 v93, 0xbeedf032, v92
	v_fma_f32 v94, v91, s6, -v93
	v_fmac_f32_e32 v93, 0x3f62ad3f, v91
	v_mul_f32_e32 v95, 0xbf52af12, v92
	v_mul_f32_e32 v97, 0xbf7e222b, v92
	;; [unrolled: 1-line block ×5, first 2 shown]
	v_fma_f32 v96, v91, s7, -v95
	v_fmac_f32_e32 v95, 0x3f116cb1, v91
	v_fma_f32 v98, v91, s10, -v97
	v_fmac_f32_e32 v97, 0x3df6dbef, v91
	;; [unrolled: 2-line block ×5, first 2 shown]
	v_add_f32_e32 v91, v6, v93
	v_add_f32_e32 v93, v6, v62
	v_sub_f32_e32 v62, v62, v36
	v_add_f32_e32 v105, v5, v61
	v_add_f32_e32 v68, v5, v68
	;; [unrolled: 1-line block ×15, first 2 shown]
	v_mul_f32_e32 v5, 0xbeedf032, v62
	v_add_f32_e32 v90, v6, v96
	v_add_f32_e32 v89, v6, v95
	v_mov_b32_e32 v95, v5
	v_fma_f32 v96, v94, s6, -v5
	v_mul_f32_e32 v5, 0xbf52af12, v62
	v_add_f32_e32 v88, v6, v98
	v_add_f32_e32 v87, v6, v97
	v_mov_b32_e32 v97, v5
	v_fma_f32 v98, v94, s7, -v5
	;; [unrolled: 5-line block ×5, first 2 shown]
	ds_read2_b32 v[5:6], v56 offset1:52
	v_mul_f32_e32 v62, 0xbe750f2a, v62
	v_mov_b32_e32 v115, v62
	v_fmac_f32_e32 v95, 0x3f62ad3f, v94
	v_fmac_f32_e32 v97, 0x3f116cb1, v94
	v_fmac_f32_e32 v99, 0x3df6dbef, v94
	v_fmac_f32_e32 v101, 0xbeb58ec6, v94
	v_fmac_f32_e32 v103, 0xbf3f9e67, v94
	v_fmac_f32_e32 v115, 0xbf788fa5, v94
	v_fma_f32 v62, v94, s13, -v62
	s_waitcnt lgkmcnt(0)
	v_add_f32_e32 v51, v5, v51
	v_add_f32_e32 v60, v6, v60
	;; [unrolled: 1-line block ×48, first 2 shown]
	v_sub_f32_e32 v45, v45, v64
	v_add_f32_e32 v64, v44, v63
	v_sub_f32_e32 v44, v44, v63
	v_mul_f32_e32 v63, 0xbf52af12, v44
	v_add_f32_e32 v5, v5, v66
	v_fma_f32 v65, v6, s7, -v63
	v_mul_f32_e32 v66, 0xbf52af12, v45
	v_add_f32_e32 v65, v65, v68
	v_mov_b32_e32 v68, v66
	v_fmac_f32_e32 v68, 0x3f116cb1, v64
	v_add_f32_e32 v68, v68, v71
	v_fma_f32 v66, v64, s7, -v66
	v_mul_f32_e32 v71, 0xbf6f5d39, v44
	v_add_f32_e32 v66, v66, v72
	v_fma_f32 v72, v6, s11, -v71
	v_add_f32_e32 v70, v72, v70
	v_mul_f32_e32 v72, 0xbf6f5d39, v45
	v_mov_b32_e32 v105, v72
	v_fmac_f32_e32 v105, 0xbeb58ec6, v64
	v_fmac_f32_e32 v63, 0x3f116cb1, v6
	v_add_f32_e32 v73, v105, v73
	v_fmac_f32_e32 v71, 0xbeb58ec6, v6
	v_mul_f32_e32 v105, 0xbe750f2a, v45
	v_add_f32_e32 v63, v63, v106
	v_add_f32_e32 v69, v71, v69
	v_fma_f32 v71, v64, s11, -v72
	v_mul_f32_e32 v72, 0xbe750f2a, v44
	v_mov_b32_e32 v106, v105
	v_fma_f32 v105, v64, s13, -v105
	v_add_f32_e32 v71, v71, v74
	v_fma_f32 v74, v6, s13, -v72
	v_fmac_f32_e32 v106, 0xbf788fa5, v64
	v_add_f32_e32 v76, v105, v76
	v_mul_f32_e32 v105, 0x3f29c268, v44
	v_add_f32_e32 v74, v74, v107
	v_add_f32_e32 v75, v106, v75
	v_fmac_f32_e32 v72, 0xbf788fa5, v6
	v_fma_f32 v106, v6, s12, -v105
	v_mul_f32_e32 v107, 0x3f29c268, v45
	v_add_f32_e32 v72, v72, v108
	v_add_f32_e32 v106, v106, v109
	v_mov_b32_e32 v108, v107
	v_fmac_f32_e32 v105, 0xbf3f9e67, v6
	v_fma_f32 v107, v64, s12, -v107
	v_mul_f32_e32 v109, 0x3f7e222b, v45
	v_add_f32_e32 v105, v105, v110
	v_add_f32_e32 v78, v107, v78
	v_mul_f32_e32 v107, 0x3f7e222b, v44
	v_mov_b32_e32 v110, v109
	v_fma_f32 v109, v64, s10, -v109
	v_mul_f32_e32 v44, 0x3eedf032, v44
	v_fmac_f32_e32 v108, 0xbf3f9e67, v64
	v_fmac_f32_e32 v110, 0x3df6dbef, v64
	v_add_f32_e32 v80, v109, v80
	v_fma_f32 v109, v6, s6, -v44
	v_mul_f32_e32 v45, 0x3eedf032, v45
	v_fmac_f32_e32 v44, 0x3f62ad3f, v6
	v_add_f32_e32 v77, v108, v77
	v_fma_f32 v108, v6, s10, -v107
	v_add_f32_e32 v79, v110, v79
	v_fmac_f32_e32 v107, 0x3df6dbef, v6
	v_mov_b32_e32 v110, v45
	v_add_f32_e32 v6, v44, v114
	v_fma_f32 v44, v64, s6, -v45
	v_add_f32_e32 v45, v48, v54
	v_sub_f32_e32 v48, v48, v54
	v_add_f32_e32 v54, v46, v59
	v_sub_f32_e32 v46, v46, v59
	v_mul_f32_e32 v59, 0xbf7e222b, v46
	v_fmac_f32_e32 v110, 0x3f62ad3f, v64
	v_fma_f32 v64, v45, s10, -v59
	v_add_f32_e32 v64, v64, v65
	v_mul_f32_e32 v65, 0xbf7e222b, v48
	v_fmac_f32_e32 v59, 0x3df6dbef, v45
	v_add_f32_e32 v44, v44, v85
	v_mov_b32_e32 v85, v65
	v_add_f32_e32 v59, v59, v63
	v_fma_f32 v63, v54, s10, -v65
	v_mul_f32_e32 v65, 0xbe750f2a, v46
	v_add_f32_e32 v63, v63, v66
	v_fma_f32 v66, v45, s13, -v65
	v_fmac_f32_e32 v85, 0x3df6dbef, v54
	v_add_f32_e32 v66, v66, v70
	v_mul_f32_e32 v70, 0xbe750f2a, v48
	v_fmac_f32_e32 v65, 0xbf788fa5, v45
	v_add_f32_e32 v68, v85, v68
	v_mov_b32_e32 v85, v70
	v_add_f32_e32 v65, v65, v69
	v_fma_f32 v69, v54, s13, -v70
	v_mul_f32_e32 v70, 0x3f6f5d39, v46
	v_add_f32_e32 v69, v69, v71
	v_fma_f32 v71, v45, s11, -v70
	v_fmac_f32_e32 v85, 0xbf788fa5, v54
	v_add_f32_e32 v71, v71, v74
	v_mul_f32_e32 v74, 0x3f6f5d39, v48
	v_add_f32_e32 v73, v85, v73
	v_mov_b32_e32 v85, v74
	v_fmac_f32_e32 v70, 0xbeb58ec6, v45
	v_fmac_f32_e32 v85, 0xbeb58ec6, v54
	v_add_f32_e32 v70, v70, v72
	v_fma_f32 v72, v54, s11, -v74
	v_mul_f32_e32 v74, 0x3eedf032, v46
	v_add_f32_e32 v75, v85, v75
	v_add_f32_e32 v72, v72, v76
	v_fma_f32 v76, v45, s6, -v74
	v_mul_f32_e32 v85, 0x3eedf032, v48
	v_add_f32_e32 v76, v76, v106
	v_mov_b32_e32 v106, v85
	v_fma_f32 v85, v54, s6, -v85
	v_fmac_f32_e32 v106, 0x3f62ad3f, v54
	v_fmac_f32_e32 v74, 0x3f62ad3f, v45
	v_add_f32_e32 v78, v85, v78
	v_mul_f32_e32 v85, 0xbf52af12, v46
	v_add_f32_e32 v108, v108, v111
	v_add_f32_e32 v77, v106, v77
	;; [unrolled: 1-line block ×3, first 2 shown]
	v_fma_f32 v105, v45, s7, -v85
	v_mul_f32_e32 v106, 0xbf52af12, v48
	v_add_f32_e32 v105, v105, v108
	v_mov_b32_e32 v108, v106
	v_fma_f32 v106, v54, s7, -v106
	v_mul_f32_e32 v46, 0xbf29c268, v46
	v_add_f32_e32 v80, v106, v80
	v_fma_f32 v106, v45, s12, -v46
	v_mul_f32_e32 v48, 0xbf29c268, v48
	v_fmac_f32_e32 v46, 0xbf3f9e67, v45
	v_add_f32_e32 v107, v107, v112
	v_fmac_f32_e32 v85, 0x3f116cb1, v45
	v_add_f32_e32 v6, v46, v6
	v_fma_f32 v45, v54, s12, -v48
	v_add_f32_e32 v46, v43, v52
	v_sub_f32_e32 v43, v43, v52
	v_add_f32_e32 v85, v85, v107
	v_mov_b32_e32 v107, v48
	v_add_f32_e32 v44, v45, v44
	v_add_f32_e32 v45, v42, v53
	v_sub_f32_e32 v42, v42, v53
	v_mul_f32_e32 v48, 0xbf6f5d39, v43
	v_fma_f32 v52, v45, s11, -v48
	v_mul_f32_e32 v53, 0xbf6f5d39, v42
	v_fmac_f32_e32 v48, 0xbeb58ec6, v45
	v_fmac_f32_e32 v108, 0x3f116cb1, v54
	;; [unrolled: 1-line block ×3, first 2 shown]
	v_mov_b32_e32 v54, v53
	v_add_f32_e32 v48, v48, v59
	v_fma_f32 v53, v46, s11, -v53
	v_mul_f32_e32 v59, 0x3f29c268, v43
	v_add_f32_e32 v52, v52, v64
	v_add_f32_e32 v53, v53, v63
	v_fma_f32 v63, v45, s12, -v59
	v_mul_f32_e32 v64, 0x3f29c268, v42
	v_fmac_f32_e32 v59, 0xbf3f9e67, v45
	v_fmac_f32_e32 v54, 0xbeb58ec6, v46
	v_add_f32_e32 v63, v63, v66
	v_mov_b32_e32 v66, v64
	v_add_f32_e32 v59, v59, v65
	v_fma_f32 v64, v46, s12, -v64
	v_mul_f32_e32 v65, 0x3eedf032, v43
	v_add_f32_e32 v54, v54, v68
	v_add_f32_e32 v64, v64, v69
	v_fma_f32 v68, v45, s6, -v65
	v_mul_f32_e32 v69, 0x3eedf032, v42
	v_fmac_f32_e32 v66, 0xbf3f9e67, v46
	v_add_f32_e32 v68, v68, v71
	v_mov_b32_e32 v71, v69
	v_add_f32_e32 v66, v66, v73
	v_fmac_f32_e32 v71, 0x3f62ad3f, v46
	v_mul_f32_e32 v73, 0xbf7e222b, v42
	v_add_f32_e32 v71, v71, v75
	v_mov_b32_e32 v75, v73
	v_fmac_f32_e32 v65, 0x3f62ad3f, v45
	v_fmac_f32_e32 v75, 0x3df6dbef, v46
	v_add_f32_e32 v65, v65, v70
	v_fma_f32 v69, v46, s6, -v69
	v_mul_f32_e32 v70, 0xbf7e222b, v43
	v_add_f32_e32 v75, v75, v77
	v_fma_f32 v73, v46, s10, -v73
	v_mul_f32_e32 v77, 0x3e750f2a, v42
	v_add_f32_e32 v69, v69, v72
	v_fma_f32 v72, v45, s10, -v70
	v_fmac_f32_e32 v70, 0x3df6dbef, v45
	v_add_f32_e32 v73, v73, v78
	v_mov_b32_e32 v78, v77
	v_add_f32_e32 v79, v108, v79
	v_add_f32_e32 v70, v70, v74
	v_mul_f32_e32 v74, 0x3e750f2a, v43
	v_fmac_f32_e32 v78, 0xbf788fa5, v46
	v_mul_f32_e32 v43, 0x3f52af12, v43
	v_add_f32_e32 v78, v78, v79
	v_fma_f32 v79, v45, s7, -v43
	v_fmac_f32_e32 v43, 0x3f116cb1, v45
	v_fma_f32 v77, v46, s13, -v77
	v_mul_f32_e32 v42, 0x3f52af12, v42
	v_add_f32_e32 v6, v43, v6
	v_add_f32_e32 v43, v38, v39
	v_sub_f32_e32 v38, v38, v39
	v_add_f32_e32 v39, v37, v40
	v_sub_f32_e32 v37, v37, v40
	v_add_f32_e32 v77, v77, v80
	v_mov_b32_e32 v80, v42
	v_fma_f32 v42, v46, s7, -v42
	v_mul_f32_e32 v40, 0xbf29c268, v37
	v_add_f32_e32 v72, v72, v76
	v_fma_f32 v76, v45, s13, -v74
	v_fmac_f32_e32 v74, 0xbf788fa5, v45
	v_add_f32_e32 v42, v42, v44
	v_fma_f32 v44, v43, s12, -v40
	v_mul_f32_e32 v45, 0xbf29c268, v38
	v_fmac_f32_e32 v40, 0xbf3f9e67, v43
	v_fmac_f32_e32 v80, 0x3f116cb1, v46
	v_mov_b32_e32 v46, v45
	v_add_f32_e32 v40, v40, v48
	v_fma_f32 v45, v39, s12, -v45
	v_mul_f32_e32 v48, 0x3f7e222b, v37
	v_add_f32_e32 v44, v44, v52
	v_add_f32_e32 v45, v45, v53
	v_fma_f32 v52, v43, s10, -v48
	v_mul_f32_e32 v53, 0x3f7e222b, v38
	v_fmac_f32_e32 v48, 0x3df6dbef, v43
	v_fmac_f32_e32 v46, 0xbf3f9e67, v39
	v_add_f32_e32 v59, v48, v59
	v_fma_f32 v48, v39, s10, -v53
	v_add_f32_e32 v46, v46, v54
	v_mov_b32_e32 v54, v53
	v_add_f32_e32 v53, v48, v64
	v_mul_f32_e32 v48, 0xbf52af12, v37
	v_add_f32_e32 v52, v52, v63
	v_fma_f32 v63, v43, s7, -v48
	v_mul_f32_e32 v64, 0xbf52af12, v38
	v_fmac_f32_e32 v48, 0x3f116cb1, v43
	v_fmac_f32_e32 v54, 0x3df6dbef, v39
	v_add_f32_e32 v65, v48, v65
	v_fma_f32 v48, v39, s7, -v64
	v_add_f32_e32 v54, v54, v66
	v_mov_b32_e32 v66, v64
	v_add_f32_e32 v64, v48, v69
	v_mul_f32_e32 v48, 0x3e750f2a, v37
	v_add_f32_e32 v63, v63, v68
	v_fma_f32 v68, v43, s13, -v48
	v_add_f32_e32 v69, v68, v72
	v_mul_f32_e32 v68, 0x3e750f2a, v38
	v_fmac_f32_e32 v48, 0xbf788fa5, v43
	v_fmac_f32_e32 v66, 0x3f116cb1, v39
	v_add_f32_e32 v70, v48, v70
	v_fma_f32 v48, v39, s13, -v68
	v_add_f32_e32 v66, v66, v71
	v_mov_b32_e32 v71, v68
	v_add_f32_e32 v73, v48, v73
	v_mul_f32_e32 v48, 0x3eedf032, v37
	v_add_f32_e32 v81, v110, v81
	v_add_f32_e32 v76, v76, v105
	v_fmac_f32_e32 v71, 0xbf788fa5, v39
	v_fma_f32 v68, v43, s6, -v48
	v_add_f32_e32 v81, v107, v81
	v_add_f32_e32 v74, v74, v85
	;; [unrolled: 1-line block ×4, first 2 shown]
	v_mul_f32_e32 v68, 0x3eedf032, v38
	v_fmac_f32_e32 v48, 0x3f62ad3f, v43
	v_add_f32_e32 v80, v80, v81
	v_add_f32_e32 v81, v48, v74
	v_fma_f32 v48, v39, s6, -v68
	v_mul_f32_e32 v37, 0xbf6f5d39, v37
	v_add_f32_e32 v109, v109, v113
	v_add_f32_e32 v85, v48, v77
	v_fma_f32 v48, v43, s11, -v37
	v_mul_f32_e32 v38, 0xbf6f5d39, v38
	v_fmac_f32_e32 v37, 0xbeb58ec6, v43
	v_add_f32_e32 v106, v106, v109
	v_add_f32_e32 v105, v37, v6
	v_fma_f32 v6, v39, s11, -v38
	v_add_f32_e32 v108, v29, v34
	v_sub_f32_e32 v29, v29, v34
	v_add_f32_e32 v79, v79, v106
	v_add_f32_e32 v42, v6, v42
	;; [unrolled: 1-line block ×3, first 2 shown]
	v_mul_f32_e32 v6, 0xbe750f2a, v29
	v_sub_f32_e32 v107, v26, v35
	v_fma_f32 v26, v106, s13, -v6
	v_add_f32_e32 v77, v26, v44
	v_mul_f32_e32 v26, 0xbe750f2a, v107
	v_add_f32_e32 v79, v48, v79
	v_mov_b32_e32 v48, v38
	v_mov_b32_e32 v34, v26
	v_fmac_f32_e32 v48, 0xbeb58ec6, v39
	v_fmac_f32_e32 v34, 0xbf788fa5, v108
	v_fma_f32 v26, v108, s13, -v26
	v_add_f32_e32 v80, v48, v80
	v_add_f32_e32 v48, v34, v46
	;; [unrolled: 1-line block ×3, first 2 shown]
	v_mul_f32_e32 v26, 0x3eedf032, v29
	v_fma_f32 v35, v106, s6, -v26
	v_add_f32_e32 v74, v35, v52
	v_mul_f32_e32 v35, 0x3eedf032, v107
	v_mov_b32_e32 v37, v35
	v_fmac_f32_e32 v37, 0x3f62ad3f, v108
	v_add_f32_e32 v45, v37, v54
	v_mul_f32_e32 v37, 0xbf29c268, v29
	v_fma_f32 v38, v106, s12, -v37
	v_mov_b32_e32 v72, v68
	v_add_f32_e32 v76, v38, v63
	v_mul_f32_e32 v38, 0xbf29c268, v107
	v_fmac_f32_e32 v72, 0x3f62ad3f, v39
	v_mov_b32_e32 v39, v38
	v_fmac_f32_e32 v37, 0xbf3f9e67, v106
	v_fmac_f32_e32 v39, 0xbf3f9e67, v108
	v_add_f32_e32 v68, v37, v65
	v_fma_f32 v37, v108, s12, -v38
	v_mul_f32_e32 v38, 0x3f52af12, v29
	v_add_f32_e32 v46, v39, v66
	v_fma_f32 v39, v106, s7, -v38
	v_add_f32_e32 v78, v72, v78
	v_fmac_f32_e32 v6, 0xbf788fa5, v106
	v_add_f32_e32 v72, v39, v69
	v_mul_f32_e32 v39, 0x3f52af12, v107
	v_add_f32_e32 v6, v6, v40
	v_mov_b32_e32 v40, v39
	v_fmac_f32_e32 v38, 0x3f116cb1, v106
	v_fmac_f32_e32 v40, 0x3f116cb1, v108
	v_add_f32_e32 v69, v38, v70
	v_fma_f32 v38, v108, s7, -v39
	v_mul_f32_e32 v39, 0xbf6f5d39, v29
	v_add_f32_e32 v43, v40, v71
	v_fma_f32 v40, v106, s11, -v39
	v_add_f32_e32 v75, v40, v75
	v_mul_f32_e32 v40, 0xbf6f5d39, v107
	v_fmac_f32_e32 v39, 0xbeb58ec6, v106
	v_mul_f32_e32 v29, 0x3f7e222b, v29
	v_mov_b32_e32 v44, v40
	v_add_f32_e32 v70, v39, v81
	v_fma_f32 v39, v108, s11, -v40
	v_fma_f32 v40, v106, s10, -v29
	v_mul_f32_e32 v52, 0x3f7e222b, v107
	v_fmac_f32_e32 v29, 0x3df6dbef, v106
	v_add_f32_e32 v38, v38, v73
	v_add_f32_e32 v73, v29, v105
	v_fma_f32 v29, v108, s10, -v52
	v_add_f32_e32 v42, v29, v42
	v_add_f32_e32 v29, v93, v23
	;; [unrolled: 1-line block ×22, first 2 shown]
	v_mov_b32_e32 v40, v52
	v_add_f32_e32 v36, v36, v28
	v_fmac_f32_e32 v40, 0x3df6dbef, v108
	v_add_f32_e32 v36, v36, v30
	v_add_f32_e32 v30, v23, v27
	v_sub_f32_e32 v23, v23, v27
	v_add_f32_e32 v27, v22, v28
	v_sub_f32_e32 v22, v22, v28
	v_add_f32_e32 v40, v40, v80
	v_mul_f32_e32 v80, 0x3f29c268, v22
	v_fma_f32 v81, v30, s12, -v80
	v_mul_f32_e32 v65, 0xbe750f2a, v22
	v_add_f32_e32 v81, v81, v84
	v_mul_f32_e32 v84, 0x3f29c268, v23
	v_fmac_f32_e32 v80, 0xbf3f9e67, v30
	v_add_f32_e32 v39, v39, v85
	v_fma_f32 v66, v30, s13, -v65
	v_fmac_f32_e32 v65, 0xbf788fa5, v30
	v_mov_b32_e32 v85, v84
	v_add_f32_e32 v80, v80, v83
	v_fma_f32 v83, v27, s12, -v84
	v_mul_f32_e32 v84, 0x3f7e222b, v22
	v_fmac_f32_e32 v26, 0x3f62ad3f, v106
	v_add_f32_e32 v65, v65, v87
	v_fma_f32 v87, v30, s10, -v84
	v_add_f32_e32 v26, v26, v59
	v_fma_f32 v35, v108, s6, -v35
	v_fmac_f32_e32 v44, 0xbeb58ec6, v108
	v_mul_f32_e32 v28, 0xbf52af12, v22
	v_mul_f32_e32 v59, 0xbf6f5d39, v22
	v_add_f32_e32 v82, v87, v82
	v_mul_f32_e32 v87, 0x3f7e222b, v23
	v_fmac_f32_e32 v84, 0x3df6dbef, v30
	v_mul_f32_e32 v22, 0x3eedf032, v22
	v_add_f32_e32 v35, v35, v53
	v_add_f32_e32 v44, v44, v78
	v_mul_f32_e32 v53, 0xbf52af12, v23
	v_mul_f32_e32 v63, 0xbf6f5d39, v23
	v_add_f32_e32 v66, v66, v88
	v_mul_f32_e32 v78, 0xbe750f2a, v23
	v_mov_b32_e32 v88, v87
	v_add_f32_e32 v67, v84, v67
	v_fma_f32 v84, v27, s10, -v87
	v_fma_f32 v87, v30, s6, -v22
	v_mul_f32_e32 v23, 0x3eedf032, v23
	v_add_f32_e32 v37, v37, v64
	v_mov_b32_e32 v54, v53
	v_mov_b32_e32 v64, v63
	;; [unrolled: 1-line block ×3, first 2 shown]
	v_add_f32_e32 v61, v87, v61
	v_mov_b32_e32 v87, v23
	v_fmac_f32_e32 v54, 0x3f116cb1, v27
	v_fma_f32 v53, v27, s7, -v53
	v_fmac_f32_e32 v64, 0xbeb58ec6, v27
	v_fma_f32 v63, v27, s11, -v63
	v_fmac_f32_e32 v79, 0xbf788fa5, v27
	v_fma_f32 v78, v27, s13, -v78
	v_fmac_f32_e32 v85, 0xbf3f9e67, v27
	v_fmac_f32_e32 v88, 0x3df6dbef, v27
	;; [unrolled: 1-line block ×3, first 2 shown]
	v_fma_f32 v23, v27, s6, -v23
	v_add_f32_e32 v27, v19, v24
	v_sub_f32_e32 v19, v19, v24
	v_add_f32_e32 v24, v18, v25
	v_sub_f32_e32 v18, v18, v25
	v_fma_f32 v52, v30, s7, -v28
	v_mul_f32_e32 v25, 0xbf7e222b, v18
	v_add_f32_e32 v52, v52, v92
	v_fmac_f32_e32 v28, 0x3f116cb1, v30
	v_fma_f32 v60, v30, s11, -v59
	v_fmac_f32_e32 v59, 0xbeb58ec6, v30
	v_fmac_f32_e32 v22, 0x3f62ad3f, v30
	v_fma_f32 v30, v27, s10, -v25
	v_add_f32_e32 v28, v28, v91
	v_add_f32_e32 v30, v30, v52
	v_mul_f32_e32 v52, 0xbf7e222b, v19
	v_fmac_f32_e32 v25, 0x3df6dbef, v27
	v_add_f32_e32 v53, v53, v95
	v_add_f32_e32 v23, v23, v62
	v_mov_b32_e32 v62, v52
	v_add_f32_e32 v25, v25, v28
	v_fma_f32 v28, v24, s10, -v52
	v_mul_f32_e32 v52, 0xbe750f2a, v18
	v_add_f32_e32 v60, v60, v90
	v_add_f32_e32 v28, v28, v53
	v_fma_f32 v53, v27, s13, -v52
	v_add_f32_e32 v54, v54, v94
	v_fmac_f32_e32 v62, 0x3df6dbef, v24
	v_add_f32_e32 v53, v53, v60
	v_mul_f32_e32 v60, 0xbe750f2a, v19
	v_add_f32_e32 v59, v59, v89
	v_add_f32_e32 v54, v62, v54
	v_mov_b32_e32 v62, v60
	v_fmac_f32_e32 v52, 0xbf788fa5, v27
	v_add_f32_e32 v64, v64, v96
	v_add_f32_e32 v63, v63, v97
	v_fmac_f32_e32 v62, 0xbf788fa5, v24
	v_add_f32_e32 v52, v52, v59
	v_fma_f32 v59, v24, s13, -v60
	v_mul_f32_e32 v60, 0x3f6f5d39, v18
	v_add_f32_e32 v62, v62, v64
	v_add_f32_e32 v59, v59, v63
	v_fma_f32 v63, v27, s11, -v60
	v_mul_f32_e32 v64, 0x3f6f5d39, v19
	v_add_f32_e32 v63, v63, v66
	v_mov_b32_e32 v66, v64
	v_fmac_f32_e32 v60, 0xbeb58ec6, v27
	v_add_f32_e32 v79, v79, v98
	v_add_f32_e32 v78, v78, v99
	v_fmac_f32_e32 v66, 0xbeb58ec6, v24
	v_add_f32_e32 v60, v60, v65
	v_fma_f32 v64, v24, s11, -v64
	v_mul_f32_e32 v65, 0x3eedf032, v18
	v_add_f32_e32 v66, v66, v79
	v_add_f32_e32 v64, v64, v78
	v_fma_f32 v78, v27, s6, -v65
	v_mul_f32_e32 v79, 0x3eedf032, v19
	v_fmac_f32_e32 v65, 0x3f62ad3f, v27
	v_add_f32_e32 v83, v83, v101
	v_add_f32_e32 v78, v78, v81
	v_mov_b32_e32 v81, v79
	v_add_f32_e32 v65, v65, v80
	v_fma_f32 v79, v24, s6, -v79
	v_mul_f32_e32 v80, 0xbf52af12, v18
	v_add_f32_e32 v79, v79, v83
	v_fma_f32 v83, v27, s7, -v80
	v_add_f32_e32 v85, v85, v100
	v_fmac_f32_e32 v81, 0x3f62ad3f, v24
	v_add_f32_e32 v82, v83, v82
	v_mul_f32_e32 v83, 0xbf52af12, v19
	v_fmac_f32_e32 v80, 0x3f116cb1, v27
	v_mul_f32_e32 v18, 0xbf29c268, v18
	v_add_f32_e32 v22, v22, v86
	v_add_f32_e32 v81, v81, v85
	v_mov_b32_e32 v85, v83
	v_add_f32_e32 v67, v80, v67
	v_fma_f32 v80, v24, s7, -v83
	v_fma_f32 v83, v27, s12, -v18
	v_fmac_f32_e32 v18, 0xbf3f9e67, v27
	v_mul_f32_e32 v19, 0xbf29c268, v19
	v_add_f32_e32 v18, v18, v22
	v_add_f32_e32 v22, v17, v20
	v_sub_f32_e32 v17, v17, v20
	v_add_f32_e32 v20, v16, v21
	v_sub_f32_e32 v16, v16, v21
	v_add_f32_e32 v61, v83, v61
	v_mov_b32_e32 v83, v19
	v_fma_f32 v19, v24, s12, -v19
	v_mul_f32_e32 v21, 0xbf6f5d39, v16
	v_fmac_f32_e32 v85, 0x3f116cb1, v24
	v_fmac_f32_e32 v83, 0xbf3f9e67, v24
	v_add_f32_e32 v19, v19, v23
	v_fma_f32 v23, v22, s11, -v21
	v_mul_f32_e32 v24, 0xbf6f5d39, v17
	v_fmac_f32_e32 v21, 0xbeb58ec6, v22
	v_mov_b32_e32 v27, v24
	v_add_f32_e32 v21, v21, v25
	v_fma_f32 v24, v20, s11, -v24
	v_mul_f32_e32 v25, 0x3f29c268, v16
	v_add_f32_e32 v23, v23, v30
	v_add_f32_e32 v24, v24, v28
	v_fma_f32 v28, v22, s12, -v25
	v_mul_f32_e32 v30, 0x3f29c268, v17
	v_fmac_f32_e32 v25, 0xbf3f9e67, v22
	v_fmac_f32_e32 v27, 0xbeb58ec6, v20
	v_add_f32_e32 v28, v28, v53
	v_mov_b32_e32 v53, v30
	v_add_f32_e32 v25, v25, v52
	v_fma_f32 v30, v20, s12, -v30
	v_mul_f32_e32 v52, 0x3eedf032, v16
	v_add_f32_e32 v27, v27, v54
	v_fmac_f32_e32 v53, 0xbf3f9e67, v20
	v_add_f32_e32 v30, v30, v59
	v_fma_f32 v54, v22, s6, -v52
	v_mul_f32_e32 v59, 0x3eedf032, v17
	v_fmac_f32_e32 v52, 0x3f62ad3f, v22
	v_add_f32_e32 v53, v53, v62
	v_mov_b32_e32 v62, v59
	v_add_f32_e32 v52, v52, v60
	v_fma_f32 v59, v20, s6, -v59
	v_mul_f32_e32 v60, 0xbf7e222b, v16
	v_add_f32_e32 v54, v54, v63
	v_fmac_f32_e32 v62, 0x3f62ad3f, v20
	v_add_f32_e32 v59, v59, v64
	v_fma_f32 v63, v22, s10, -v60
	v_mul_f32_e32 v64, 0xbf7e222b, v17
	;; [unrolled: 11-line block ×3, first 2 shown]
	v_fmac_f32_e32 v65, 0xbf788fa5, v22
	v_mul_f32_e32 v16, 0x3f52af12, v16
	v_add_f32_e32 v66, v66, v81
	v_mov_b32_e32 v81, v79
	v_add_f32_e32 v65, v65, v67
	v_fma_f32 v67, v20, s13, -v79
	v_fma_f32 v79, v22, s7, -v16
	v_mul_f32_e32 v17, 0x3f52af12, v17
	v_fmac_f32_e32 v16, 0x3f116cb1, v22
	v_add_f32_e32 v61, v79, v61
	v_mov_b32_e32 v79, v17
	v_add_f32_e32 v16, v16, v18
	v_add_f32_e32 v18, v13, v14
	v_sub_f32_e32 v13, v13, v14
	v_add_f32_e32 v14, v12, v15
	v_sub_f32_e32 v12, v12, v15
	v_fmac_f32_e32 v81, 0xbf788fa5, v20
	v_fmac_f32_e32 v79, 0x3f116cb1, v20
	v_fma_f32 v17, v20, s7, -v17
	v_mul_f32_e32 v15, 0xbf29c268, v12
	v_mul_f32_e32 v20, 0xbf29c268, v13
	v_add_f32_e32 v17, v17, v19
	v_fma_f32 v19, v18, s12, -v15
	v_mov_b32_e32 v22, v20
	v_fmac_f32_e32 v15, 0xbf3f9e67, v18
	v_fma_f32 v20, v14, s12, -v20
	v_fmac_f32_e32 v22, 0xbf3f9e67, v14
	v_add_f32_e32 v15, v15, v21
	v_add_f32_e32 v20, v20, v24
	v_mul_f32_e32 v21, 0x3f7e222b, v12
	v_mul_f32_e32 v24, 0x3f7e222b, v13
	v_add_f32_e32 v19, v19, v23
	v_add_f32_e32 v22, v22, v27
	v_fma_f32 v23, v18, s10, -v21
	v_mov_b32_e32 v27, v24
	v_fmac_f32_e32 v21, 0x3df6dbef, v18
	v_fma_f32 v24, v14, s10, -v24
	v_fmac_f32_e32 v27, 0x3df6dbef, v14
	v_add_f32_e32 v21, v21, v25
	v_add_f32_e32 v24, v24, v30
	v_mul_f32_e32 v25, 0xbf52af12, v12
	v_mul_f32_e32 v30, 0xbf52af12, v13
	v_add_f32_e32 v23, v23, v28
	v_add_f32_e32 v27, v27, v53
	v_fma_f32 v28, v18, s7, -v25
	v_mov_b32_e32 v53, v30
	v_fmac_f32_e32 v25, 0x3f116cb1, v18
	v_fmac_f32_e32 v53, 0x3f116cb1, v14
	v_add_f32_e32 v25, v25, v52
	v_mul_f32_e32 v52, 0x3e750f2a, v12
	v_add_f32_e32 v84, v84, v103
	v_add_f32_e32 v62, v53, v62
	v_fma_f32 v53, v18, s13, -v52
	v_add_f32_e32 v80, v80, v84
	v_add_f32_e32 v63, v53, v63
	v_mul_f32_e32 v53, 0x3e750f2a, v13
	v_fmac_f32_e32 v52, 0xbf788fa5, v18
	v_add_f32_e32 v67, v67, v80
	v_add_f32_e32 v80, v52, v60
	v_fma_f32 v52, v14, s13, -v53
	v_add_f32_e32 v64, v52, v64
	v_mul_f32_e32 v52, 0x3eedf032, v12
	v_add_f32_e32 v78, v78, v82
	v_add_f32_e32 v28, v28, v54
	v_mov_b32_e32 v54, v53
	v_fma_f32 v53, v18, s6, -v52
	v_add_f32_e32 v78, v53, v78
	v_mul_f32_e32 v53, 0x3eedf032, v13
	v_fmac_f32_e32 v52, 0x3f62ad3f, v18
	v_add_f32_e32 v87, v87, v104
	v_add_f32_e32 v65, v52, v65
	v_fma_f32 v52, v14, s6, -v53
	v_mul_f32_e32 v12, 0xbf6f5d39, v12
	v_add_f32_e32 v88, v88, v102
	v_add_f32_e32 v83, v83, v87
	;; [unrolled: 1-line block ×3, first 2 shown]
	v_fma_f32 v52, v18, s11, -v12
	v_mul_f32_e32 v13, 0xbf6f5d39, v13
	v_fmac_f32_e32 v12, 0xbeb58ec6, v18
	v_add_f32_e32 v85, v85, v88
	v_add_f32_e32 v79, v79, v83
	v_add_f32_e32 v82, v52, v61
	v_mov_b32_e32 v52, v13
	v_add_f32_e32 v83, v12, v16
	v_fma_f32 v12, v14, s11, -v13
	v_sub_f32_e32 v13, v9, v11
	v_add_f32_e32 v81, v81, v85
	v_add_f32_e32 v85, v8, v10
	v_sub_f32_e32 v87, v8, v10
	v_mul_f32_e32 v8, 0xbe750f2a, v13
	v_add_f32_e32 v86, v9, v11
	v_fma_f32 v9, v85, s13, -v8
	v_add_f32_e32 v19, v9, v19
	v_mul_f32_e32 v9, 0xbe750f2a, v87
	v_fmac_f32_e32 v52, 0xbeb58ec6, v14
	v_mov_b32_e32 v10, v9
	v_fma_f32 v9, v86, s13, -v9
	v_fmac_f32_e32 v54, 0xbf788fa5, v14
	v_add_f32_e32 v79, v52, v79
	v_fmac_f32_e32 v10, 0xbf788fa5, v86
	v_add_f32_e32 v52, v9, v20
	v_mul_f32_e32 v9, 0x3eedf032, v13
	v_add_f32_e32 v66, v54, v66
	v_mov_b32_e32 v54, v53
	v_add_f32_e32 v53, v10, v22
	v_fma_f32 v10, v85, s6, -v9
	v_add_f32_e32 v16, v10, v23
	v_mul_f32_e32 v10, 0x3eedf032, v87
	v_fma_f32 v30, v14, s7, -v30
	v_mov_b32_e32 v11, v10
	v_fma_f32 v10, v86, s6, -v10
	v_add_f32_e32 v30, v30, v59
	v_fmac_f32_e32 v54, 0x3f62ad3f, v14
	v_fmac_f32_e32 v11, 0x3f62ad3f, v86
	v_add_f32_e32 v59, v10, v24
	v_mul_f32_e32 v10, 0xbf29c268, v13
	v_add_f32_e32 v81, v54, v81
	v_add_f32_e32 v54, v11, v27
	v_fma_f32 v11, v85, s12, -v10
	v_add_f32_e32 v18, v11, v28
	v_mul_f32_e32 v11, 0xbf29c268, v87
	v_add_f32_e32 v84, v12, v17
	v_mov_b32_e32 v12, v11
	v_fma_f32 v11, v86, s12, -v11
	v_fmac_f32_e32 v12, 0xbf3f9e67, v86
	v_add_f32_e32 v61, v11, v30
	v_mul_f32_e32 v11, 0x3f52af12, v13
	v_add_f32_e32 v60, v12, v62
	v_fma_f32 v12, v85, s7, -v11
	v_fmac_f32_e32 v8, 0xbf788fa5, v85
	v_add_f32_e32 v14, v12, v63
	v_mul_f32_e32 v12, 0x3f52af12, v87
	v_add_f32_e32 v8, v8, v15
	v_mov_b32_e32 v15, v12
	v_fma_f32 v12, v86, s7, -v12
	v_fmac_f32_e32 v15, 0x3f116cb1, v86
	v_add_f32_e32 v63, v12, v64
	v_mul_f32_e32 v12, 0xbf6f5d39, v13
	v_add_f32_e32 v62, v15, v66
	v_fma_f32 v15, v85, s11, -v12
	v_add_f32_e32 v17, v15, v78
	v_mul_f32_e32 v15, 0xbf6f5d39, v87
	v_mov_b32_e32 v20, v15
	v_fmac_f32_e32 v20, 0xbeb58ec6, v86
	v_fmac_f32_e32 v9, 0x3f62ad3f, v85
	v_add_f32_e32 v64, v20, v81
	v_mul_f32_e32 v20, 0x3f7e222b, v87
	v_add_f32_e32 v9, v9, v21
	v_fmac_f32_e32 v12, 0xbeb58ec6, v85
	v_fma_f32 v15, v86, s11, -v15
	v_mov_b32_e32 v21, v20
	v_fma_f32 v20, v86, s10, -v20
	v_add_f32_e32 v12, v12, v65
	v_add_f32_e32 v65, v15, v67
	;; [unrolled: 1-line block ×3, first 2 shown]
	v_lshrrev_b32_e32 v20, 1, v58
	v_mul_u32_u24_e32 v20, 26, v20
	v_or_b32_e32 v20, v20, v7
	v_lshl_add_u32 v78, v20, 2, 0
	s_waitcnt lgkmcnt(0)
	; wave barrier
	ds_write2_b32 v78, v5, v77 offset1:2
	ds_write2_b32 v78, v74, v76 offset0:4 offset1:6
	ds_write2_b32 v78, v72, v75 offset0:8 offset1:10
	;; [unrolled: 1-line block ×5, first 2 shown]
	ds_write_b32 v78, v6 offset:96
	v_lshrrev_b32_e32 v5, 1, v33
	v_mul_f32_e32 v15, 0x3f7e222b, v13
	v_mul_u32_u24_e32 v5, 26, v5
	v_fmac_f32_e32 v10, 0xbf3f9e67, v85
	v_fmac_f32_e32 v11, 0x3f116cb1, v85
	v_fma_f32 v13, v85, s10, -v15
	v_fmac_f32_e32 v15, 0x3df6dbef, v85
	v_or_b32_e32 v5, v5, v7
	v_add_f32_e32 v10, v10, v25
	v_add_f32_e32 v11, v11, v80
	;; [unrolled: 1-line block ×3, first 2 shown]
	v_fmac_f32_e32 v21, 0x3df6dbef, v86
	v_add_f32_e32 v15, v15, v83
	v_lshl_add_u32 v68, v5, 2, 0
	v_add_f32_e32 v66, v21, v79
	ds_write2_b32 v68, v29, v19 offset1:2
	ds_write2_b32 v68, v16, v18 offset0:4 offset1:6
	ds_write2_b32 v68, v14, v17 offset0:8 offset1:10
	ds_write2_b32 v68, v13, v15 offset0:12 offset1:14
	ds_write2_b32 v68, v12, v11 offset0:16 offset1:18
	ds_write2_b32 v68, v10, v9 offset0:20 offset1:22
	ds_write_b32 v68, v8 offset:96
	s_waitcnt lgkmcnt(0)
	; wave barrier
	s_waitcnt lgkmcnt(0)
	ds_read2_b32 v[5:6], v56 offset1:52
	ds_read2_b32 v[29:30], v56 offset0:104 offset1:156
	ds_read2_b32 v[27:28], v47 offset0:80 offset1:132
	;; [unrolled: 1-line block ×12, first 2 shown]
	s_waitcnt lgkmcnt(0)
	; wave barrier
	s_waitcnt lgkmcnt(0)
	ds_write2_b32 v78, v51, v48 offset1:2
	ds_write2_b32 v78, v45, v46 offset0:4 offset1:6
	ds_write2_b32 v78, v43, v44 offset0:8 offset1:10
	;; [unrolled: 1-line block ×5, first 2 shown]
	ds_write_b32 v78, v34 offset:96
	ds_write2_b32 v68, v36, v53 offset1:2
	ds_write2_b32 v68, v54, v60 offset0:4 offset1:6
	ds_write2_b32 v68, v62, v64 offset0:8 offset1:10
	;; [unrolled: 1-line block ×5, first 2 shown]
	ds_write_b32 v68, v52 offset:96
	v_subrev_u32_e32 v59, 26, v58
	v_cndmask_b32_e64 v90, v59, v58, s[0:1]
	v_mul_i32_i24_e32 v34, 12, v90
	v_mov_b32_e32 v35, 0
	v_lshlrev_b64 v[34:35], 3, v[34:35]
	v_mov_b32_e32 v36, s9
	v_add_co_u32_e64 v38, s[2:3], s8, v34
	v_addc_co_u32_e64 v39, s[2:3], v36, v35, s[2:3]
	s_waitcnt lgkmcnt(0)
	; wave barrier
	s_waitcnt lgkmcnt(0)
	global_load_dwordx4 v[34:37], v[38:39], off offset:192
	global_load_dwordx4 v[42:45], v[38:39], off offset:208
	s_movk_i32 s2, 0x4f
	v_mul_lo_u16_sdwa v40, v33, s2 dst_sel:DWORD dst_unused:UNUSED_PAD src0_sel:BYTE_0 src1_sel:DWORD
	v_lshrrev_b16_e32 v88, 11, v40
	v_mul_lo_u16_e32 v40, 26, v88
	v_sub_u16_e32 v89, v33, v40
	v_mov_b32_e32 v33, 12
	v_mul_u32_u24_sdwa v33, v89, v33 dst_sel:DWORD dst_unused:UNUSED_PAD src0_sel:BYTE_0 src1_sel:DWORD
	v_lshlrev_b32_e32 v33, 3, v33
	global_load_dwordx4 v[61:64], v33, s[8:9] offset:192
	global_load_dwordx4 v[70:73], v33, s[8:9] offset:208
	global_load_dwordx4 v[82:85], v[38:39], off offset:224
	global_load_dwordx4 v[91:94], v33, s[8:9] offset:224
	global_load_dwordx4 v[95:98], v[38:39], off offset:240
	global_load_dwordx4 v[99:102], v[38:39], off offset:256
	global_load_dwordx4 v[103:106], v33, s[8:9] offset:240
	ds_read2_b32 v[51:52], v56 offset0:104 offset1:156
	ds_read2_b32 v[65:66], v47 offset0:80 offset1:132
	;; [unrolled: 1-line block ×4, first 2 shown]
	global_load_dwordx4 v[107:110], v33, s[8:9] offset:256
	global_load_dwordx4 v[115:118], v33, s[8:9] offset:272
	global_load_dwordx4 v[111:114], v[38:39], off offset:272
	v_cmp_lt_u32_e64 s[2:3], 25, v58
	v_mul_u32_u24_e32 v88, 0x548, v88
	s_waitcnt vmcnt(11) lgkmcnt(3)
	v_mul_f32_e32 v40, v51, v35
	v_fma_f32 v80, v29, v34, -v40
	v_mul_f32_e32 v81, v29, v35
	s_waitcnt lgkmcnt(2)
	v_mul_f32_e32 v29, v65, v37
	v_fma_f32 v76, v27, v36, -v29
	v_mul_f32_e32 v77, v27, v37
	s_waitcnt vmcnt(10) lgkmcnt(1)
	v_mul_f32_e32 v27, v78, v43
	v_fma_f32 v74, v25, v42, -v27
	v_mul_f32_e32 v75, v25, v43
	s_waitcnt lgkmcnt(0)
	v_mul_f32_e32 v25, v86, v45
	v_fma_f32 v68, v23, v44, -v25
	v_mul_f32_e32 v69, v23, v45
	s_waitcnt vmcnt(9)
	v_mul_f32_e32 v23, v52, v62
	v_fma_f32 v54, v30, v61, -v23
	v_mul_f32_e32 v23, v66, v64
	v_fmac_f32_e32 v81, v51, v34
	v_mul_f32_e32 v60, v30, v62
	v_fma_f32 v48, v28, v63, -v23
	v_mul_f32_e32 v51, v28, v64
	ds_read2_b32 v[27:28], v49 offset0:8 offset1:60
	ds_read2_b32 v[29:30], v49 offset0:112 offset1:164
	s_waitcnt vmcnt(8)
	v_mul_f32_e32 v23, v79, v71
	v_fma_f32 v43, v26, v70, -v23
	v_mul_f32_e32 v23, v87, v73
	v_fmac_f32_e32 v69, v86, v44
	v_mul_f32_e32 v44, v26, v71
	v_fma_f32 v38, v24, v72, -v23
	s_waitcnt vmcnt(7) lgkmcnt(1)
	v_mul_f32_e32 v23, v27, v83
	v_fmac_f32_e32 v44, v79, v70
	v_fma_f32 v70, v21, v82, -v23
	v_mul_f32_e32 v71, v21, v83
	s_waitcnt lgkmcnt(0)
	v_mul_f32_e32 v21, v29, v85
	v_fmac_f32_e32 v51, v66, v63
	v_fma_f32 v62, v19, v84, -v21
	v_mul_f32_e32 v63, v19, v85
	s_waitcnt vmcnt(6)
	v_mul_f32_e32 v19, v28, v92
	v_fmac_f32_e32 v77, v65, v36
	v_fma_f32 v36, v22, v91, -v19
	v_mul_f32_e32 v37, v22, v92
	ds_read2_b32 v[21:22], v32 offset0:88 offset1:140
	v_mul_f32_e32 v19, v30, v94
	v_fma_f32 v32, v20, v93, -v19
	v_mul_f32_e32 v33, v20, v94
	ds_read2_b32 v[19:20], v50 offset0:64 offset1:116
	v_mul_f32_e32 v39, v24, v73
	ds_read2_b32 v[23:24], v50 offset0:168 offset1:220
	s_waitcnt vmcnt(5) lgkmcnt(2)
	v_mul_f32_e32 v25, v21, v96
	v_fma_f32 v64, v17, v95, -v25
	ds_read2_b32 v[25:26], v57 offset0:16 offset1:68
	v_mul_f32_e32 v65, v17, v96
	s_waitcnt lgkmcnt(2)
	v_mul_f32_e32 v17, v19, v98
	v_fmac_f32_e32 v39, v87, v72
	v_fma_f32 v72, v15, v97, -v17
	v_mul_f32_e32 v73, v15, v98
	s_waitcnt vmcnt(4) lgkmcnt(1)
	v_mul_f32_e32 v15, v23, v100
	v_fmac_f32_e32 v75, v78, v42
	v_fma_f32 v78, v13, v99, -v15
	v_mul_f32_e32 v79, v13, v100
	s_waitcnt lgkmcnt(0)
	v_mul_f32_e32 v13, v25, v102
	v_fmac_f32_e32 v71, v27, v82
	v_fma_f32 v82, v11, v101, -v13
	v_mul_f32_e32 v83, v11, v102
	s_waitcnt vmcnt(3)
	v_mul_f32_e32 v11, v22, v104
	v_fma_f32 v34, v18, v103, -v11
	v_mul_f32_e32 v11, v20, v106
	v_fma_f32 v40, v16, v105, -v11
	s_waitcnt vmcnt(2)
	v_mul_f32_e32 v11, v24, v108
	v_fma_f32 v45, v14, v107, -v11
	v_mul_f32_e32 v46, v14, v108
	v_mul_f32_e32 v11, v26, v110
	ds_read2_b32 v[13:14], v57 offset0:120 offset1:172
	v_fmac_f32_e32 v60, v52, v61
	v_fma_f32 v52, v12, v109, -v11
	v_mul_f32_e32 v53, v12, v110
	ds_read2_b32 v[11:12], v31 offset0:96 offset1:148
	s_waitcnt vmcnt(0) lgkmcnt(1)
	v_mul_f32_e32 v15, v13, v112
	v_mul_f32_e32 v87, v7, v114
	v_fmac_f32_e32 v63, v29, v84
	v_fma_f32 v84, v9, v111, -v15
	v_mul_f32_e32 v85, v9, v112
	s_waitcnt lgkmcnt(0)
	v_mul_f32_e32 v9, v11, v114
	v_fmac_f32_e32 v87, v11, v113
	v_fmac_f32_e32 v85, v13, v111
	v_fma_f32 v86, v7, v113, -v9
	v_mul_f32_e32 v7, v14, v116
	v_sub_f32_e32 v11, v81, v87
	v_fmac_f32_e32 v83, v25, v101
	v_fma_f32 v31, v10, v115, -v7
	v_mul_f32_e32 v61, v10, v116
	v_mul_f32_e32 v7, v12, v118
	;; [unrolled: 1-line block ×3, first 2 shown]
	v_add_f32_e32 v9, v80, v86
	v_mul_f32_e32 v10, 0xbeedf032, v11
	v_sub_f32_e32 v13, v77, v85
	v_fmac_f32_e32 v79, v23, v99
	v_mul_f32_e32 v42, v16, v106
	v_fmac_f32_e32 v61, v14, v115
	v_fma_f32 v66, v8, v117, -v7
	v_fmac_f32_e32 v67, v12, v117
	v_fma_f32 v7, v9, s6, -v10
	v_add_f32_e32 v12, v76, v84
	v_mul_f32_e32 v14, 0xbf52af12, v13
	v_sub_f32_e32 v16, v75, v83
	v_fmac_f32_e32 v73, v19, v97
	v_mul_f32_e32 v35, v18, v104
	v_add_f32_e32 v7, v5, v7
	v_fma_f32 v8, v12, s7, -v14
	v_add_f32_e32 v15, v74, v82
	v_mul_f32_e32 v17, 0xbf7e222b, v16
	v_sub_f32_e32 v19, v69, v79
	v_fmac_f32_e32 v65, v21, v95
	v_fmac_f32_e32 v35, v22, v103
	;; [unrolled: 1-line block ×3, first 2 shown]
	v_add_f32_e32 v7, v8, v7
	v_fma_f32 v8, v15, s10, -v17
	v_add_f32_e32 v18, v68, v78
	v_mul_f32_e32 v20, 0xbf6f5d39, v19
	v_sub_f32_e32 v22, v71, v73
	v_add_f32_e32 v7, v8, v7
	v_fma_f32 v8, v18, s11, -v20
	v_add_f32_e32 v21, v70, v72
	v_mul_f32_e32 v23, 0xbf29c268, v22
	v_sub_f32_e32 v25, v63, v65
	v_fmac_f32_e32 v46, v24, v107
	v_fmac_f32_e32 v53, v26, v109
	v_add_f32_e32 v7, v8, v7
	v_fma_f32 v8, v21, s12, -v23
	v_add_f32_e32 v24, v62, v64
	v_mul_f32_e32 v26, 0xbe750f2a, v25
	v_add_f32_e32 v7, v8, v7
	v_fma_f32 v8, v24, s13, -v26
	v_add_f32_e32 v27, v8, v7
	v_mov_b32_e32 v7, 0x548
	v_cndmask_b32_e64 v7, 0, v7, s[2:3]
	v_lshlrev_b32_e32 v8, 2, v90
	v_add3_u32 v92, 0, v7, v8
	v_add_f32_e32 v7, v5, v80
	v_add_f32_e32 v7, v7, v76
	;; [unrolled: 1-line block ×11, first 2 shown]
	v_fmac_f32_e32 v37, v28, v91
	v_add_f32_e32 v28, v7, v86
	ds_read2_b32 v[7:8], v56 offset1:52
	s_waitcnt lgkmcnt(0)
	; wave barrier
	s_waitcnt lgkmcnt(0)
	ds_write2_b32 v92, v28, v27 offset1:26
	v_mul_f32_e32 v27, 0xbf52af12, v11
	v_fma_f32 v28, v9, s7, -v27
	v_mul_f32_e32 v29, 0xbf6f5d39, v13
	v_fmac_f32_e32 v33, v30, v93
	v_add_f32_e32 v28, v5, v28
	v_fma_f32 v30, v12, s11, -v29
	v_add_f32_e32 v28, v30, v28
	v_mul_f32_e32 v30, 0xbf7e222b, v11
	v_fma_f32 v90, v9, s10, -v30
	v_mul_f32_e32 v91, 0xbe750f2a, v13
	v_add_f32_e32 v90, v5, v90
	v_fma_f32 v93, v12, s13, -v91
	v_add_f32_e32 v90, v93, v90
	v_mul_f32_e32 v93, 0xbe750f2a, v16
	v_fma_f32 v94, v15, s13, -v93
	v_add_f32_e32 v28, v94, v28
	v_mul_f32_e32 v94, 0x3f6f5d39, v16
	;; [unrolled: 3-line block ×8, first 2 shown]
	v_fma_f32 v101, v24, s12, -v100
	v_add_f32_e32 v90, v101, v90
	ds_write2_b32 v92, v28, v90 offset0:52 offset1:78
	v_mul_f32_e32 v28, 0xbf6f5d39, v11
	v_fma_f32 v90, v9, s11, -v28
	v_mul_f32_e32 v101, 0x3f29c268, v13
	v_add_f32_e32 v90, v5, v90
	v_fma_f32 v102, v12, s12, -v101
	v_add_f32_e32 v90, v102, v90
	v_mul_f32_e32 v102, 0xbf29c268, v11
	v_fma_f32 v103, v9, s12, -v102
	v_mul_f32_e32 v104, 0x3f7e222b, v13
	v_add_f32_e32 v103, v5, v103
	v_fma_f32 v105, v12, s10, -v104
	v_add_f32_e32 v103, v105, v103
	v_mul_f32_e32 v105, 0x3eedf032, v16
	v_fma_f32 v106, v15, s6, -v105
	v_add_f32_e32 v90, v106, v90
	v_mul_f32_e32 v106, 0xbf52af12, v16
	;; [unrolled: 3-line block ×8, first 2 shown]
	v_fma_f32 v113, v24, s11, -v112
	v_add_f32_e32 v103, v113, v103
	v_fmac_f32_e32 v10, 0x3f62ad3f, v9
	v_mul_f32_e32 v11, 0xbe750f2a, v11
	ds_write2_b32 v92, v90, v103 offset0:104 offset1:130
	v_fmac_f32_e32 v27, 0x3f116cb1, v9
	v_fmac_f32_e32 v30, 0x3df6dbef, v9
	;; [unrolled: 1-line block ×4, first 2 shown]
	v_fma_f32 v90, v9, s13, -v11
	v_fmac_f32_e32 v11, 0xbf788fa5, v9
	v_add_f32_e32 v9, v5, v10
	v_fmac_f32_e32 v14, 0x3f116cb1, v12
	v_add_f32_e32 v9, v14, v9
	v_add_f32_e32 v14, v5, v30
	v_fmac_f32_e32 v91, 0xbf788fa5, v12
	v_add_f32_e32 v10, v5, v27
	v_fmac_f32_e32 v29, 0xbeb58ec6, v12
	v_add_f32_e32 v14, v91, v14
	v_mul_f32_e32 v13, 0x3eedf032, v13
	v_fmac_f32_e32 v94, 0xbeb58ec6, v15
	v_add_f32_e32 v10, v29, v10
	v_add_f32_e32 v27, v5, v28
	;; [unrolled: 1-line block ×4, first 2 shown]
	v_fma_f32 v30, v12, s6, -v13
	v_fmac_f32_e32 v13, 0x3f62ad3f, v12
	v_add_f32_e32 v5, v5, v11
	v_add_f32_e32 v11, v94, v14
	v_mul_f32_e32 v14, 0xbf29c268, v16
	v_add_f32_e32 v5, v13, v5
	v_fma_f32 v16, v15, s12, -v14
	v_fmac_f32_e32 v14, 0xbf3f9e67, v15
	v_add_f32_e32 v5, v14, v5
	v_mul_f32_e32 v14, 0x3f52af12, v19
	v_add_f32_e32 v29, v30, v29
	v_fmac_f32_e32 v17, 0x3df6dbef, v15
	v_fmac_f32_e32 v93, 0xbf788fa5, v15
	;; [unrolled: 1-line block ×4, first 2 shown]
	v_fma_f32 v15, v18, s7, -v14
	v_fmac_f32_e32 v14, 0x3f116cb1, v18
	v_fmac_f32_e32 v101, 0xbf3f9e67, v12
	;; [unrolled: 1-line block ×3, first 2 shown]
	v_add_f32_e32 v16, v16, v29
	v_add_f32_e32 v5, v14, v5
	v_mul_f32_e32 v14, 0xbf6f5d39, v22
	v_add_f32_e32 v27, v101, v27
	v_add_f32_e32 v28, v104, v28
	;; [unrolled: 1-line block ×3, first 2 shown]
	v_fma_f32 v16, v21, s11, -v14
	v_fmac_f32_e32 v14, 0xbeb58ec6, v21
	v_add_f32_e32 v10, v93, v10
	v_add_f32_e32 v12, v105, v27
	;; [unrolled: 1-line block ×3, first 2 shown]
	v_fmac_f32_e32 v95, 0xbf3f9e67, v18
	v_fmac_f32_e32 v96, 0x3f62ad3f, v18
	;; [unrolled: 1-line block ×4, first 2 shown]
	v_add_f32_e32 v5, v14, v5
	v_mul_f32_e32 v14, 0x3f7e222b, v25
	v_add_f32_e32 v10, v95, v10
	v_add_f32_e32 v11, v96, v11
	;; [unrolled: 1-line block ×4, first 2 shown]
	v_fmac_f32_e32 v97, 0x3df6dbef, v21
	v_fmac_f32_e32 v98, 0x3f116cb1, v21
	;; [unrolled: 1-line block ×4, first 2 shown]
	v_add_f32_e32 v15, v16, v15
	v_fma_f32 v16, v24, s10, -v14
	v_fmac_f32_e32 v14, 0x3df6dbef, v24
	v_add_f32_e32 v10, v97, v10
	v_add_f32_e32 v11, v98, v11
	;; [unrolled: 1-line block ×4, first 2 shown]
	v_fmac_f32_e32 v99, 0x3f62ad3f, v24
	v_fmac_f32_e32 v100, 0xbf3f9e67, v24
	v_fmac_f32_e32 v111, 0x3f116cb1, v24
	v_fmac_f32_e32 v112, 0xbeb58ec6, v24
	v_add_f32_e32 v15, v16, v15
	v_add_f32_e32 v5, v14, v5
	v_add_f32_e32 v10, v99, v10
	v_add_f32_e32 v11, v100, v11
	v_add_f32_e32 v12, v111, v12
	v_add_f32_e32 v13, v112, v13
	ds_write2_b32 v92, v15, v5 offset0:156 offset1:182
	v_sub_f32_e32 v5, v60, v67
	v_add_u32_e32 v93, 0x400, v92
	v_add_f32_e32 v9, v17, v9
	v_fmac_f32_e32 v20, 0xbeb58ec6, v18
	v_add_f32_e32 v14, v54, v66
	v_mul_f32_e32 v15, 0xbeedf032, v5
	ds_write2_b32 v92, v13, v12 offset0:208 offset1:234
	ds_write2_b32 v93, v11, v10 offset0:4 offset1:30
	v_mul_f32_e32 v10, 0xbf52af12, v5
	v_mul_f32_e32 v13, 0xbf7e222b, v5
	;; [unrolled: 1-line block ×5, first 2 shown]
	v_add_f32_e32 v9, v20, v9
	v_fmac_f32_e32 v23, 0xbf3f9e67, v21
	v_fma_f32 v12, v14, s6, -v15
	v_fmac_f32_e32 v15, 0x3f62ad3f, v14
	v_fma_f32 v11, v14, s7, -v10
	;; [unrolled: 2-line block ×6, first 2 shown]
	v_fmac_f32_e32 v5, 0xbf788fa5, v14
	v_add_f32_e32 v12, v6, v12
	v_add_f32_e32 v14, v6, v15
	;; [unrolled: 1-line block ×13, first 2 shown]
	v_sub_f32_e32 v22, v51, v61
	v_add_f32_e32 v6, v6, v48
	v_add_f32_e32 v9, v23, v9
	;; [unrolled: 1-line block ×3, first 2 shown]
	v_mul_f32_e32 v23, 0xbf52af12, v22
	v_add_f32_e32 v6, v6, v43
	v_fmac_f32_e32 v26, 0xbf788fa5, v24
	v_fma_f32 v24, v21, s7, -v23
	v_sub_f32_e32 v25, v44, v53
	v_add_f32_e32 v6, v6, v38
	v_add_f32_e32 v9, v26, v9
	;; [unrolled: 1-line block ×4, first 2 shown]
	v_mul_f32_e32 v26, 0xbf7e222b, v25
	v_add_f32_e32 v6, v6, v36
	v_fma_f32 v27, v24, s10, -v26
	v_sub_f32_e32 v28, v39, v46
	v_add_f32_e32 v6, v6, v32
	v_add_f32_e32 v12, v27, v12
	;; [unrolled: 1-line block ×3, first 2 shown]
	v_mul_f32_e32 v29, 0xbf6f5d39, v28
	v_add_f32_e32 v6, v6, v34
	v_fma_f32 v30, v27, s11, -v29
	v_sub_f32_e32 v90, v37, v42
	v_add_f32_e32 v6, v6, v40
	v_add_f32_e32 v12, v30, v12
	v_add_f32_e32 v30, v36, v40
	v_mul_f32_e32 v91, 0xbf29c268, v90
	v_sub_f32_e32 v96, v33, v35
	v_add_f32_e32 v6, v6, v45
	v_fma_f32 v94, v30, s12, -v91
	v_add_f32_e32 v95, v32, v34
	v_mul_f32_e32 v97, 0xbe750f2a, v96
	ds_write_b32 v92, v9 offset:1248
	v_mov_b32_e32 v9, 2
	v_add_f32_e32 v6, v6, v52
	v_add_f32_e32 v12, v94, v12
	v_fma_f32 v94, v95, s13, -v97
	v_lshlrev_b32_sdwa v9, v9, v89 dst_sel:DWORD dst_unused:UNUSED_PAD src0_sel:DWORD src1_sel:BYTE_0
	v_add_f32_e32 v6, v6, v31
	v_add_f32_e32 v12, v94, v12
	v_add3_u32 v94, 0, v88, v9
	v_add_f32_e32 v6, v6, v66
	ds_write2_b32 v94, v6, v12 offset1:26
	v_mul_f32_e32 v6, 0xbf6f5d39, v22
	v_fma_f32 v9, v21, s11, -v6
	v_add_f32_e32 v9, v9, v11
	v_mul_f32_e32 v11, 0xbe750f2a, v22
	v_fma_f32 v12, v21, s13, -v11
	v_add_f32_e32 v12, v12, v15
	;; [unrolled: 3-line block ×9, first 2 shown]
	v_mul_f32_e32 v102, 0xbf29c268, v96
	v_fma_f32 v103, v95, s12, -v102
	v_fmac_f32_e32 v6, 0xbeb58ec6, v21
	v_fmac_f32_e32 v11, 0xbf788fa5, v21
	v_add_f32_e32 v12, v103, v12
	v_add_f32_e32 v6, v6, v10
	;; [unrolled: 1-line block ×3, first 2 shown]
	v_mul_f32_e32 v11, 0x3f29c268, v22
	ds_write2_b32 v94, v9, v12 offset0:52 offset1:78
	v_fma_f32 v12, v21, s12, -v11
	v_add_f32_e32 v12, v12, v16
	v_fmac_f32_e32 v11, 0xbf3f9e67, v21
	v_mul_f32_e32 v16, 0x3eedf032, v22
	v_fmac_f32_e32 v15, 0xbf788fa5, v24
	v_add_f32_e32 v11, v11, v17
	v_fma_f32 v17, v21, s6, -v16
	v_fmac_f32_e32 v16, 0x3f62ad3f, v21
	v_add_f32_e32 v6, v15, v6
	v_mul_f32_e32 v15, 0x3eedf032, v25
	v_fmac_f32_e32 v23, 0x3f116cb1, v21
	v_mul_f32_e32 v13, 0x3f7e222b, v22
	v_add_f32_e32 v5, v16, v5
	v_fma_f32 v16, v24, s6, -v15
	v_fmac_f32_e32 v15, 0x3f62ad3f, v24
	v_add_f32_e32 v9, v23, v14
	v_fma_f32 v14, v21, s10, -v13
	v_fmac_f32_e32 v13, 0x3df6dbef, v21
	v_add_f32_e32 v11, v15, v11
	v_mul_f32_e32 v15, 0xbf52af12, v25
	v_add_f32_e32 v13, v13, v19
	v_add_f32_e32 v12, v16, v12
	v_fma_f32 v16, v24, s7, -v15
	v_fmac_f32_e32 v15, 0x3f116cb1, v24
	v_add_f32_e32 v14, v14, v18
	v_add_f32_e32 v13, v15, v13
	v_mul_f32_e32 v15, 0xbf29c268, v25
	v_add_f32_e32 v14, v16, v14
	v_fma_f32 v16, v24, s12, -v15
	v_fmac_f32_e32 v15, 0xbf3f9e67, v24
	v_add_f32_e32 v17, v17, v20
	v_add_f32_e32 v5, v15, v5
	v_mul_f32_e32 v15, 0xbf7e222b, v28
	v_add_f32_e32 v16, v16, v17
	v_fma_f32 v17, v27, s10, -v15
	v_fmac_f32_e32 v15, 0x3df6dbef, v27
	v_add_f32_e32 v11, v15, v11
	v_mul_f32_e32 v15, 0x3e750f2a, v28
	v_fmac_f32_e32 v26, 0x3df6dbef, v24
	v_add_f32_e32 v12, v17, v12
	v_fma_f32 v17, v27, s13, -v15
	v_fmac_f32_e32 v15, 0xbf788fa5, v27
	v_add_f32_e32 v9, v26, v9
	v_fmac_f32_e32 v88, 0xbeb58ec6, v24
	v_fmac_f32_e32 v29, 0xbeb58ec6, v27
	v_add_f32_e32 v13, v15, v13
	v_mul_f32_e32 v15, 0x3f52af12, v28
	v_add_f32_e32 v10, v88, v10
	v_add_f32_e32 v9, v29, v9
	v_fmac_f32_e32 v89, 0xbf3f9e67, v27
	v_fmac_f32_e32 v98, 0x3f62ad3f, v27
	v_add_f32_e32 v14, v17, v14
	v_fma_f32 v17, v27, s7, -v15
	v_fmac_f32_e32 v15, 0x3f116cb1, v27
	v_fmac_f32_e32 v91, 0xbf3f9e67, v30
	v_add_f32_e32 v6, v89, v6
	v_add_f32_e32 v10, v98, v10
	;; [unrolled: 1-line block ×4, first 2 shown]
	v_fmac_f32_e32 v99, 0x3df6dbef, v30
	v_fmac_f32_e32 v100, 0x3f116cb1, v30
	v_mul_f32_e32 v15, 0x3e750f2a, v90
	v_fmac_f32_e32 v97, 0xbf788fa5, v95
	v_add_f32_e32 v16, v17, v16
	v_add_f32_e32 v6, v99, v6
	;; [unrolled: 1-line block ×3, first 2 shown]
	v_fma_f32 v17, v30, s13, -v15
	v_fmac_f32_e32 v15, 0xbf788fa5, v30
	v_add_f32_e32 v89, v97, v9
	v_fmac_f32_e32 v101, 0x3f62ad3f, v95
	v_fmac_f32_e32 v102, 0xbf3f9e67, v95
	v_mul_f32_e32 v9, 0x3f52af12, v96
	v_add_f32_e32 v11, v15, v11
	v_mul_f32_e32 v15, 0x3eedf032, v90
	v_add_f32_e32 v88, v101, v6
	v_add_f32_e32 v6, v102, v10
	v_fma_f32 v10, v95, s7, -v9
	v_fmac_f32_e32 v9, 0x3f116cb1, v95
	v_add_f32_e32 v12, v17, v12
	v_fma_f32 v17, v30, s6, -v15
	v_fmac_f32_e32 v15, 0x3f62ad3f, v30
	v_add_f32_e32 v9, v9, v11
	v_mul_f32_e32 v11, 0xbf6f5d39, v96
	v_add_f32_e32 v13, v15, v13
	v_mul_f32_e32 v15, 0xbf6f5d39, v90
	v_add_f32_e32 v10, v10, v12
	v_fma_f32 v12, v95, s11, -v11
	v_fmac_f32_e32 v11, 0xbeb58ec6, v95
	v_add_f32_e32 v14, v17, v14
	v_fma_f32 v17, v30, s11, -v15
	v_fmac_f32_e32 v15, 0xbeb58ec6, v30
	v_add_f32_e32 v11, v11, v13
	v_mul_f32_e32 v13, 0x3f7e222b, v96
	v_add_f32_e32 v16, v17, v16
	v_add_f32_e32 v5, v15, v5
	;; [unrolled: 1-line block ×3, first 2 shown]
	v_fma_f32 v14, v95, s10, -v13
	v_fmac_f32_e32 v13, 0x3df6dbef, v95
	v_add_f32_e32 v14, v14, v16
	v_add_f32_e32 v5, v13, v5
	v_add_u32_e32 v95, 0x400, v94
	ds_write2_b32 v94, v10, v12 offset0:104 offset1:130
	ds_write2_b32 v94, v14, v5 offset0:156 offset1:182
	;; [unrolled: 1-line block ×4, first 2 shown]
	ds_write_b32 v94, v89 offset:1248
	s_waitcnt lgkmcnt(0)
	; wave barrier
	s_waitcnt lgkmcnt(0)
	ds_read2_b32 v[5:6], v56 offset1:52
	ds_read2_b32 v[9:10], v41 offset0:82 offset1:134
	v_add_u32_e32 v96, 0xe00, v56
	ds_read2_b32 v[13:14], v49 offset0:164 offset1:216
	ds_read2_b32 v[11:12], v96 offset0:118 offset1:170
	;; [unrolled: 1-line block ×10, first 2 shown]
                                        ; implicit-def: $vgpr90
                                        ; implicit-def: $vgpr91
	s_and_saveexec_b64 s[2:3], s[0:1]
	s_cbranch_execz .LBB0_15
; %bb.14:
	ds_read_b32 v88, v56 offset:1248
	ds_read_b32 v89, v56 offset:2600
	;; [unrolled: 1-line block ×4, first 2 shown]
.LBB0_15:
	s_or_b64 exec, exec, s[2:3]
	v_add_f32_e32 v97, v7, v81
	v_add_f32_e32 v97, v97, v77
	;; [unrolled: 1-line block ×10, first 2 shown]
	v_sub_f32_e32 v80, v80, v86
	v_add_f32_e32 v97, v97, v85
	v_mul_f32_e32 v86, 0xbeedf032, v80
	v_mul_f32_e32 v98, 0xbf52af12, v80
	v_mul_f32_e32 v100, 0xbf7e222b, v80
	v_mul_f32_e32 v102, 0xbf6f5d39, v80
	v_mul_f32_e32 v104, 0xbf29c268, v80
	v_mul_f32_e32 v80, 0xbe750f2a, v80
	v_add_f32_e32 v97, v97, v87
	v_add_f32_e32 v81, v81, v87
	v_mov_b32_e32 v87, v86
	v_mov_b32_e32 v99, v98
	;; [unrolled: 1-line block ×6, first 2 shown]
	v_fmac_f32_e32 v87, 0x3f62ad3f, v81
	v_fma_f32 v86, v81, s6, -v86
	v_fmac_f32_e32 v99, 0x3f116cb1, v81
	v_fma_f32 v98, v81, s7, -v98
	;; [unrolled: 2-line block ×6, first 2 shown]
	v_sub_f32_e32 v76, v76, v84
	v_add_f32_e32 v87, v7, v87
	v_add_f32_e32 v86, v7, v86
	;; [unrolled: 1-line block ×13, first 2 shown]
	v_mul_f32_e32 v80, 0xbf52af12, v76
	v_mov_b32_e32 v81, v80
	v_fma_f32 v80, v77, s7, -v80
	v_mul_f32_e32 v84, 0xbf6f5d39, v76
	v_fmac_f32_e32 v81, 0x3f116cb1, v77
	v_add_f32_e32 v80, v80, v86
	v_mov_b32_e32 v85, v84
	v_fma_f32 v84, v77, s11, -v84
	v_mul_f32_e32 v86, 0xbe750f2a, v76
	v_add_f32_e32 v81, v81, v87
	v_fmac_f32_e32 v85, 0xbeb58ec6, v77
	v_add_f32_e32 v84, v84, v98
	v_mov_b32_e32 v87, v86
	v_fma_f32 v86, v77, s13, -v86
	v_mul_f32_e32 v98, 0x3f29c268, v76
	v_add_f32_e32 v85, v85, v99
	v_add_f32_e32 v86, v86, v100
	v_mov_b32_e32 v99, v98
	v_fma_f32 v98, v77, s12, -v98
	v_mul_f32_e32 v100, 0x3f7e222b, v76
	v_mul_f32_e32 v76, 0x3eedf032, v76
	v_fmac_f32_e32 v87, 0xbf788fa5, v77
	v_add_f32_e32 v98, v98, v102
	v_mov_b32_e32 v102, v76
	v_fma_f32 v76, v77, s6, -v76
	v_sub_f32_e32 v74, v74, v82
	v_add_f32_e32 v87, v87, v101
	v_mov_b32_e32 v101, v100
	v_add_f32_e32 v7, v76, v7
	v_add_f32_e32 v75, v75, v83
	v_mul_f32_e32 v76, 0xbf7e222b, v74
	v_fmac_f32_e32 v99, 0xbf3f9e67, v77
	v_fmac_f32_e32 v101, 0x3df6dbef, v77
	v_fma_f32 v100, v77, s10, -v100
	v_fmac_f32_e32 v102, 0x3f62ad3f, v77
	v_mov_b32_e32 v77, v76
	v_fma_f32 v76, v75, s10, -v76
	v_fmac_f32_e32 v77, 0x3df6dbef, v75
	v_add_f32_e32 v76, v76, v80
	v_mul_f32_e32 v80, 0xbe750f2a, v74
	v_add_f32_e32 v77, v77, v81
	v_mov_b32_e32 v81, v80
	v_fma_f32 v80, v75, s13, -v80
	v_mul_f32_e32 v82, 0x3f6f5d39, v74
	v_fmac_f32_e32 v81, 0xbf788fa5, v75
	v_add_f32_e32 v80, v80, v84
	v_mov_b32_e32 v83, v82
	v_fma_f32 v82, v75, s11, -v82
	v_mul_f32_e32 v84, 0x3eedf032, v74
	v_add_f32_e32 v81, v81, v85
	v_add_f32_e32 v82, v82, v86
	v_mov_b32_e32 v85, v84
	v_fma_f32 v84, v75, s6, -v84
	v_mul_f32_e32 v86, 0xbf52af12, v74
	v_mul_f32_e32 v74, 0xbf29c268, v74
	v_fmac_f32_e32 v83, 0xbeb58ec6, v75
	v_add_f32_e32 v84, v84, v98
	v_mov_b32_e32 v98, v74
	v_fma_f32 v74, v75, s12, -v74
	v_sub_f32_e32 v68, v68, v78
	v_add_f32_e32 v83, v83, v87
	v_mov_b32_e32 v87, v86
	v_add_f32_e32 v7, v74, v7
	v_add_f32_e32 v69, v69, v79
	v_mul_f32_e32 v74, 0xbf6f5d39, v68
	v_fmac_f32_e32 v85, 0x3f62ad3f, v75
	v_fmac_f32_e32 v87, 0x3f116cb1, v75
	v_fma_f32 v86, v75, s7, -v86
	v_fmac_f32_e32 v98, 0xbf3f9e67, v75
	v_mov_b32_e32 v75, v74
	v_fma_f32 v74, v69, s11, -v74
	v_fmac_f32_e32 v75, 0xbeb58ec6, v69
	v_add_f32_e32 v74, v74, v76
	v_mul_f32_e32 v76, 0x3f29c268, v68
	v_add_f32_e32 v75, v75, v77
	v_mov_b32_e32 v77, v76
	v_fma_f32 v76, v69, s12, -v76
	v_mul_f32_e32 v78, 0x3eedf032, v68
	v_fmac_f32_e32 v77, 0xbf3f9e67, v69
	v_add_f32_e32 v76, v76, v80
	v_mov_b32_e32 v79, v78
	v_fma_f32 v78, v69, s6, -v78
	v_mul_f32_e32 v80, 0xbf7e222b, v68
	v_add_f32_e32 v77, v77, v81
	v_fmac_f32_e32 v79, 0x3f62ad3f, v69
	v_add_f32_e32 v78, v78, v82
	v_mov_b32_e32 v81, v80
	v_fma_f32 v80, v69, s10, -v80
	v_mul_f32_e32 v82, 0x3e750f2a, v68
	v_mul_f32_e32 v68, 0x3f52af12, v68
	v_add_f32_e32 v79, v79, v83
	v_add_f32_e32 v80, v80, v84
	v_mov_b32_e32 v83, v82
	v_mov_b32_e32 v84, v68
	v_fmac_f32_e32 v81, 0x3df6dbef, v69
	v_fmac_f32_e32 v83, 0xbf788fa5, v69
	v_fma_f32 v82, v69, s13, -v82
	v_fmac_f32_e32 v84, 0x3f116cb1, v69
	v_fma_f32 v68, v69, s7, -v68
	v_sub_f32_e32 v69, v70, v72
	v_add_f32_e32 v7, v68, v7
	v_add_f32_e32 v68, v71, v73
	v_mul_f32_e32 v70, 0xbf29c268, v69
	v_mov_b32_e32 v71, v70
	v_fma_f32 v70, v68, s12, -v70
	v_mul_f32_e32 v72, 0x3f7e222b, v69
	v_fmac_f32_e32 v71, 0xbf3f9e67, v68
	v_add_f32_e32 v70, v70, v74
	v_mov_b32_e32 v73, v72
	v_fma_f32 v72, v68, s10, -v72
	v_mul_f32_e32 v74, 0xbf52af12, v69
	v_add_f32_e32 v71, v71, v75
	v_fmac_f32_e32 v73, 0x3df6dbef, v68
	v_add_f32_e32 v72, v72, v76
	v_mov_b32_e32 v75, v74
	v_fma_f32 v74, v68, s7, -v74
	v_mul_f32_e32 v76, 0x3e750f2a, v69
	v_add_f32_e32 v73, v73, v77
	v_fmac_f32_e32 v75, 0x3f116cb1, v68
	v_add_f32_e32 v74, v74, v78
	v_mov_b32_e32 v77, v76
	v_fma_f32 v76, v68, s13, -v76
	v_mul_f32_e32 v78, 0x3eedf032, v69
	v_mul_f32_e32 v69, 0xbf6f5d39, v69
	v_add_f32_e32 v75, v75, v79
	v_add_f32_e32 v76, v76, v80
	v_mov_b32_e32 v79, v78
	v_mov_b32_e32 v80, v69
	v_sub_f32_e32 v62, v62, v64
	v_fmac_f32_e32 v77, 0xbf788fa5, v68
	v_fmac_f32_e32 v79, 0x3f62ad3f, v68
	v_fma_f32 v78, v68, s6, -v78
	v_fmac_f32_e32 v80, 0xbeb58ec6, v68
	v_fma_f32 v68, v68, s11, -v69
	v_add_f32_e32 v63, v63, v65
	v_mul_f32_e32 v64, 0xbe750f2a, v62
	v_add_f32_e32 v7, v68, v7
	v_mov_b32_e32 v65, v64
	v_fma_f32 v64, v63, s13, -v64
	v_mul_f32_e32 v68, 0x3eedf032, v62
	v_fmac_f32_e32 v65, 0xbf788fa5, v63
	v_add_f32_e32 v64, v64, v70
	v_mov_b32_e32 v69, v68
	v_fma_f32 v68, v63, s6, -v68
	v_mul_f32_e32 v70, 0xbf29c268, v62
	v_add_f32_e32 v65, v65, v71
	v_fmac_f32_e32 v69, 0x3f62ad3f, v63
	v_add_f32_e32 v68, v68, v72
	v_mov_b32_e32 v71, v70
	v_fma_f32 v70, v63, s12, -v70
	v_mul_f32_e32 v72, 0x3f52af12, v62
	v_add_f32_e32 v69, v69, v73
	v_add_f32_e32 v70, v70, v74
	v_mov_b32_e32 v73, v72
	v_fma_f32 v72, v63, s7, -v72
	v_mul_f32_e32 v74, 0xbf6f5d39, v62
	v_mul_f32_e32 v62, 0x3f7e222b, v62
	v_add_f32_e32 v72, v72, v76
	v_mov_b32_e32 v76, v62
	v_fma_f32 v62, v63, s10, -v62
	v_add_f32_e32 v7, v62, v7
	v_add_f32_e32 v62, v8, v60
	;; [unrolled: 1-line block ×20, first 2 shown]
	v_fmac_f32_e32 v71, 0xbf3f9e67, v63
	v_add_f32_e32 v62, v62, v53
	v_add_f32_e32 v81, v81, v85
	;; [unrolled: 1-line block ×6, first 2 shown]
	v_mov_b32_e32 v75, v74
	v_fma_f32 v74, v63, s11, -v74
	v_fmac_f32_e32 v76, 0x3df6dbef, v63
	v_add_f32_e32 v62, v62, v61
	v_sub_f32_e32 v54, v54, v66
	v_add_f32_e32 v77, v77, v81
	v_add_f32_e32 v79, v79, v83
	v_fmac_f32_e32 v73, 0x3f116cb1, v63
	v_fmac_f32_e32 v75, 0xbeb58ec6, v63
	v_add_f32_e32 v74, v74, v78
	v_add_f32_e32 v76, v76, v80
	;; [unrolled: 1-line block ×4, first 2 shown]
	v_mul_f32_e32 v63, 0xbeedf032, v54
	v_mul_f32_e32 v67, 0xbf52af12, v54
	;; [unrolled: 1-line block ×6, first 2 shown]
	v_add_f32_e32 v73, v73, v77
	v_add_f32_e32 v75, v75, v79
	v_mov_b32_e32 v66, v63
	v_mov_b32_e32 v77, v67
	;; [unrolled: 1-line block ×6, first 2 shown]
	v_sub_f32_e32 v31, v48, v31
	v_fmac_f32_e32 v66, 0x3f62ad3f, v60
	v_fma_f32 v63, v60, s6, -v63
	v_fmac_f32_e32 v77, 0x3f116cb1, v60
	v_fma_f32 v67, v60, s7, -v67
	;; [unrolled: 2-line block ×6, first 2 shown]
	v_add_f32_e32 v51, v51, v61
	v_mul_f32_e32 v48, 0xbf52af12, v31
	v_add_f32_e32 v66, v8, v66
	v_add_f32_e32 v63, v8, v63
	;; [unrolled: 1-line block ×12, first 2 shown]
	v_mov_b32_e32 v54, v48
	v_fma_f32 v48, v51, s7, -v48
	v_mul_f32_e32 v60, 0xbf6f5d39, v31
	v_fmac_f32_e32 v54, 0x3f116cb1, v51
	v_add_f32_e32 v48, v48, v63
	v_mov_b32_e32 v61, v60
	v_fma_f32 v60, v51, s11, -v60
	v_mul_f32_e32 v63, 0xbe750f2a, v31
	v_add_f32_e32 v54, v54, v66
	v_fmac_f32_e32 v61, 0xbeb58ec6, v51
	v_add_f32_e32 v60, v60, v67
	v_mov_b32_e32 v66, v63
	v_fma_f32 v63, v51, s13, -v63
	v_mul_f32_e32 v67, 0x3f29c268, v31
	v_add_f32_e32 v61, v61, v77
	v_add_f32_e32 v63, v63, v78
	v_mov_b32_e32 v77, v67
	v_fma_f32 v67, v51, s12, -v67
	v_mul_f32_e32 v78, 0x3f7e222b, v31
	v_mul_f32_e32 v31, 0x3eedf032, v31
	v_fmac_f32_e32 v66, 0xbf788fa5, v51
	v_add_f32_e32 v67, v67, v80
	v_mov_b32_e32 v80, v31
	v_fma_f32 v31, v51, s6, -v31
	v_sub_f32_e32 v43, v43, v52
	v_add_f32_e32 v66, v66, v79
	v_mov_b32_e32 v79, v78
	v_add_f32_e32 v8, v31, v8
	v_add_f32_e32 v31, v44, v53
	v_mul_f32_e32 v44, 0xbf7e222b, v43
	v_fmac_f32_e32 v77, 0xbf3f9e67, v51
	v_fmac_f32_e32 v79, 0x3df6dbef, v51
	v_fma_f32 v78, v51, s10, -v78
	v_fmac_f32_e32 v80, 0x3f62ad3f, v51
	v_mov_b32_e32 v51, v44
	v_fma_f32 v44, v31, s10, -v44
	v_add_f32_e32 v44, v44, v48
	v_mul_f32_e32 v48, 0xbe750f2a, v43
	v_fmac_f32_e32 v51, 0x3df6dbef, v31
	v_mov_b32_e32 v52, v48
	v_fma_f32 v48, v31, s13, -v48
	v_mul_f32_e32 v53, 0x3f6f5d39, v43
	v_add_f32_e32 v51, v51, v54
	v_fmac_f32_e32 v52, 0xbf788fa5, v31
	v_add_f32_e32 v48, v48, v60
	v_mov_b32_e32 v54, v53
	v_fma_f32 v53, v31, s11, -v53
	v_mul_f32_e32 v60, 0x3eedf032, v43
	v_add_f32_e32 v52, v52, v61
	v_fmac_f32_e32 v54, 0xbeb58ec6, v31
	v_add_f32_e32 v53, v53, v63
	v_mov_b32_e32 v61, v60
	v_fma_f32 v60, v31, s6, -v60
	v_mul_f32_e32 v63, 0xbf52af12, v43
	v_mul_f32_e32 v43, 0xbf29c268, v43
	v_add_f32_e32 v54, v54, v66
	v_add_f32_e32 v60, v60, v67
	v_mov_b32_e32 v66, v63
	v_mov_b32_e32 v67, v43
	v_fmac_f32_e32 v61, 0x3f62ad3f, v31
	v_fmac_f32_e32 v66, 0x3f116cb1, v31
	v_fma_f32 v63, v31, s7, -v63
	v_fmac_f32_e32 v67, 0xbf3f9e67, v31
	v_fma_f32 v31, v31, s12, -v43
	v_sub_f32_e32 v38, v38, v45
	v_add_f32_e32 v8, v31, v8
	v_add_f32_e32 v31, v39, v46
	v_mul_f32_e32 v39, 0xbf6f5d39, v38
	v_mov_b32_e32 v43, v39
	v_fma_f32 v39, v31, s11, -v39
	v_add_f32_e32 v39, v39, v44
	v_mul_f32_e32 v44, 0x3f29c268, v38
	v_fmac_f32_e32 v43, 0xbeb58ec6, v31
	v_mov_b32_e32 v45, v44
	v_fma_f32 v44, v31, s12, -v44
	v_mul_f32_e32 v46, 0x3eedf032, v38
	v_add_f32_e32 v43, v43, v51
	v_fmac_f32_e32 v45, 0xbf3f9e67, v31
	v_add_f32_e32 v44, v44, v48
	v_mov_b32_e32 v48, v46
	v_fma_f32 v46, v31, s6, -v46
	v_mul_f32_e32 v51, 0xbf7e222b, v38
	v_add_f32_e32 v45, v45, v52
	v_fmac_f32_e32 v48, 0x3f62ad3f, v31
	v_add_f32_e32 v46, v46, v53
	v_mov_b32_e32 v52, v51
	v_fma_f32 v51, v31, s10, -v51
	v_mul_f32_e32 v53, 0x3e750f2a, v38
	v_mul_f32_e32 v38, 0x3f52af12, v38
	v_add_f32_e32 v48, v48, v54
	v_add_f32_e32 v51, v51, v60
	v_mov_b32_e32 v54, v53
	v_mov_b32_e32 v60, v38
	v_fmac_f32_e32 v52, 0x3df6dbef, v31
	v_fmac_f32_e32 v54, 0xbf788fa5, v31
	v_fma_f32 v53, v31, s13, -v53
	v_fmac_f32_e32 v60, 0x3f116cb1, v31
	v_fma_f32 v31, v31, s7, -v38
	v_sub_f32_e32 v36, v36, v40
	v_add_f32_e32 v8, v31, v8
	v_add_f32_e32 v31, v37, v42
	v_mul_f32_e32 v37, 0xbf29c268, v36
	v_mov_b32_e32 v38, v37
	v_fma_f32 v37, v31, s12, -v37
	v_add_f32_e32 v37, v37, v39
	v_mul_f32_e32 v39, 0x3f7e222b, v36
	v_fmac_f32_e32 v38, 0xbf3f9e67, v31
	v_mov_b32_e32 v40, v39
	v_fma_f32 v39, v31, s10, -v39
	v_mul_f32_e32 v42, 0xbf52af12, v36
	v_add_f32_e32 v38, v38, v43
	v_fmac_f32_e32 v40, 0x3df6dbef, v31
	v_add_f32_e32 v39, v39, v44
	v_mov_b32_e32 v43, v42
	v_fma_f32 v42, v31, s7, -v42
	v_mul_f32_e32 v44, 0x3e750f2a, v36
	v_add_f32_e32 v40, v40, v45
	v_fmac_f32_e32 v43, 0x3f116cb1, v31
	v_add_f32_e32 v42, v42, v46
	v_mov_b32_e32 v45, v44
	v_fma_f32 v44, v31, s13, -v44
	v_mul_f32_e32 v46, 0x3eedf032, v36
	v_mul_f32_e32 v36, 0xbf6f5d39, v36
	v_add_f32_e32 v43, v43, v48
	v_add_f32_e32 v44, v44, v51
	v_mov_b32_e32 v48, v46
	v_mov_b32_e32 v51, v36
	v_fmac_f32_e32 v45, 0xbf788fa5, v31
	v_fmac_f32_e32 v48, 0x3f62ad3f, v31
	v_fma_f32 v46, v31, s6, -v46
	v_fmac_f32_e32 v51, 0xbeb58ec6, v31
	v_fma_f32 v31, v31, s11, -v36
	v_sub_f32_e32 v32, v32, v34
	v_add_f32_e32 v77, v77, v81
	v_add_f32_e32 v8, v31, v8
	;; [unrolled: 1-line block ×3, first 2 shown]
	v_mul_f32_e32 v33, 0xbe750f2a, v32
	v_add_f32_e32 v80, v80, v84
	v_add_f32_e32 v61, v61, v77
	v_mov_b32_e32 v34, v33
	v_fma_f32 v33, v31, s13, -v33
	v_add_f32_e32 v67, v67, v80
	v_add_f32_e32 v52, v52, v61
	;; [unrolled: 1-line block ×3, first 2 shown]
	v_mul_f32_e32 v33, 0x3eedf032, v32
	v_add_f32_e32 v60, v60, v67
	v_mov_b32_e32 v35, v33
	v_fma_f32 v33, v31, s6, -v33
	v_add_f32_e32 v79, v79, v83
	v_add_f32_e32 v78, v78, v82
	v_add_f32_e32 v51, v51, v60
	v_add_f32_e32 v60, v33, v39
	v_mul_f32_e32 v33, 0xbf29c268, v32
	v_add_f32_e32 v66, v66, v79
	v_add_f32_e32 v63, v63, v78
	v_fmac_f32_e32 v34, 0xbf788fa5, v31
	v_fmac_f32_e32 v35, 0x3f62ad3f, v31
	v_mov_b32_e32 v36, v33
	v_fma_f32 v33, v31, s12, -v33
	v_mul_f32_e32 v37, 0x3f52af12, v32
	v_mul_f32_e32 v39, 0xbf6f5d39, v32
	;; [unrolled: 1-line block ×3, first 2 shown]
	v_add_f32_e32 v54, v54, v66
	v_add_f32_e32 v53, v53, v63
	;; [unrolled: 1-line block ×5, first 2 shown]
	v_mov_b32_e32 v38, v37
	v_mov_b32_e32 v40, v39
	;; [unrolled: 1-line block ×3, first 2 shown]
	v_add_f32_e32 v45, v45, v52
	v_add_f32_e32 v48, v48, v54
	;; [unrolled: 1-line block ×3, first 2 shown]
	v_fmac_f32_e32 v36, 0xbf3f9e67, v31
	v_fmac_f32_e32 v38, 0x3f116cb1, v31
	v_fma_f32 v37, v31, s7, -v37
	v_fmac_f32_e32 v40, 0xbeb58ec6, v31
	v_fma_f32 v39, v31, s11, -v39
	v_fmac_f32_e32 v42, 0x3df6dbef, v31
	v_add_f32_e32 v36, v36, v43
	v_add_f32_e32 v38, v38, v45
	;; [unrolled: 1-line block ×6, first 2 shown]
	v_fma_f32 v31, v31, s10, -v32
	v_add_f32_e32 v8, v31, v8
	s_waitcnt lgkmcnt(0)
	; wave barrier
	s_waitcnt lgkmcnt(0)
	ds_write2_b32 v92, v97, v65 offset1:26
	ds_write2_b32 v92, v69, v71 offset0:52 offset1:78
	ds_write2_b32 v92, v73, v75 offset0:104 offset1:130
	;; [unrolled: 1-line block ×5, first 2 shown]
	ds_write_b32 v92, v64 offset:1248
	ds_write2_b32 v94, v62, v34 offset1:26
	ds_write2_b32 v94, v35, v36 offset0:52 offset1:78
	ds_write2_b32 v94, v38, v40 offset0:104 offset1:130
	;; [unrolled: 1-line block ×5, first 2 shown]
	ds_write_b32 v94, v61 offset:1248
	s_waitcnt lgkmcnt(0)
	; wave barrier
	s_waitcnt lgkmcnt(0)
	ds_read2_b32 v[31:32], v56 offset1:52
	ds_read2_b32 v[35:36], v41 offset0:82 offset1:134
	ds_read2_b32 v[37:38], v49 offset0:164 offset1:216
	;; [unrolled: 1-line block ×11, first 2 shown]
                                        ; implicit-def: $vgpr57
                                        ; implicit-def: $vgpr62
	s_and_saveexec_b64 s[2:3], s[0:1]
	s_cbranch_execz .LBB0_17
; %bb.16:
	ds_read_b32 v60, v56 offset:1248
	ds_read_b32 v61, v56 offset:2600
	;; [unrolled: 1-line block ×4, first 2 shown]
	v_mov_b32_e32 v59, v55
.LBB0_17:
	s_or_b64 exec, exec, s[2:3]
	s_and_saveexec_b64 s[0:1], vcc
	s_cbranch_execz .LBB0_20
; %bb.18:
	v_mul_u32_u24_e32 v7, 3, v0
	v_lshlrev_b32_e32 v7, 3, v7
	global_load_dwordx4 v[63:66], v7, s[8:9] offset:2688
	global_load_dwordx2 v[55:56], v7, s[8:9] offset:2704
	v_mov_b32_e32 v7, 0xffffff64
	v_mov_b32_e32 v8, 0
	v_mad_u32_u24 v7, v0, 3, v7
	v_lshlrev_b64 v[67:68], 3, v[7:8]
	v_mov_b32_e32 v87, s9
	v_add_co_u32_e32 v71, vcc, s8, v67
	v_addc_co_u32_e32 v72, vcc, v87, v68, vcc
	global_load_dwordx4 v[67:70], v[71:72], off offset:2688
	global_load_dwordx2 v[83:84], v[71:72], off offset:2704
	v_mov_b32_e32 v7, 0xfffffec8
	v_mad_u32_u24 v7, v0, 3, v7
	v_lshlrev_b64 v[71:72], 3, v[7:8]
	v_mov_b32_e32 v7, 0xfffffe2c
	v_add_co_u32_e32 v75, vcc, s8, v71
	v_addc_co_u32_e32 v76, vcc, v87, v72, vcc
	global_load_dwordx2 v[85:86], v[75:76], off offset:2704
	global_load_dwordx4 v[71:74], v[75:76], off offset:2688
	v_mul_lo_u32 v75, s5, v3
	v_mul_lo_u32 v76, s4, v4
	v_mad_u64_u32 v[3:4], s[0:1], s4, v3, 0
	v_mad_u32_u24 v7, v0, 3, v7
	v_mov_b32_e32 v77, 0xfffffd90
	v_add3_u32 v4, v4, v76, v75
	v_lshlrev_b64 v[75:76], 3, v[7:8]
	v_mad_u32_u24 v7, v0, 3, v77
	v_add_co_u32_e32 v81, vcc, s8, v75
	v_addc_co_u32_e32 v82, vcc, v87, v76, vcc
	global_load_dwordx2 v[92:93], v[81:82], off offset:2704
	global_load_dwordx4 v[75:78], v[81:82], off offset:2688
	v_lshlrev_b64 v[79:80], 3, v[7:8]
	s_mov_b32 s1, 0x60f25deb
	v_add_co_u32_e32 v94, vcc, s8, v79
	v_addc_co_u32_e32 v95, vcc, v87, v80, vcc
	global_load_dwordx2 v[96:97], v[94:95], off offset:2704
	global_load_dwordx4 v[79:82], v[94:95], off offset:2688
	v_lshlrev_b64 v[3:4], 3, v[3:4]
	s_movk_i32 s2, 0x1000
	v_add_co_u32_e32 v3, vcc, s14, v3
	s_movk_i32 s0, 0x152
	s_waitcnt vmcnt(9) lgkmcnt(1)
	v_mul_f32_e32 v0, v54, v65
	v_mul_f32_e32 v7, v52, v64
	s_waitcnt vmcnt(8) lgkmcnt(0)
	v_mul_f32_e32 v87, v50, v56
	v_mul_f32_e32 v54, v54, v66
	;; [unrolled: 1-line block ×4, first 2 shown]
	v_fmac_f32_e32 v0, v28, v66
	v_fma_f32 v7, v30, v63, -v7
	v_fma_f32 v26, v26, v55, -v87
	;; [unrolled: 1-line block ×3, first 2 shown]
	v_fmac_f32_e32 v64, v52, v63
	v_fmac_f32_e32 v56, v50, v55
	v_sub_f32_e32 v0, v48, v0
	v_sub_f32_e32 v26, v7, v26
	;; [unrolled: 1-line block ×4, first 2 shown]
	v_add_f32_e32 v55, v0, v26
	v_fma_f32 v24, v24, 2.0, -v28
	v_fma_f32 v7, v7, 2.0, -v26
	s_waitcnt vmcnt(7)
	v_mul_f32_e32 v26, v53, v69
	v_mul_f32_e32 v50, v51, v68
	s_waitcnt vmcnt(6)
	v_mul_f32_e32 v56, v49, v84
	v_mul_f32_e32 v65, v53, v70
	v_fma_f32 v48, v48, 2.0, -v0
	v_mul_f32_e32 v66, v29, v68
	v_fma_f32 v53, v0, 2.0, -v55
	v_sub_f32_e32 v63, v24, v7
	v_fmac_f32_e32 v26, v27, v70
	v_fma_f32 v0, v29, v67, -v50
	v_fma_f32 v7, v25, v83, -v56
	;; [unrolled: 1-line block ×3, first 2 shown]
	v_sub_f32_e32 v54, v28, v30
	v_fma_f32 v30, v64, 2.0, -v30
	v_fma_f32 v27, v24, 2.0, -v63
	v_sub_f32_e32 v24, v47, v26
	v_sub_f32_e32 v7, v0, v7
	;; [unrolled: 1-line block ×3, first 2 shown]
	v_mul_f32_e32 v25, v25, v84
	v_sub_f32_e32 v64, v48, v30
	v_fmac_f32_e32 v66, v51, v67
	v_add_f32_e32 v30, v24, v7
	v_fmac_f32_e32 v25, v49, v83
	v_fma_f32 v23, v23, 2.0, -v26
	v_fma_f32 v0, v0, 2.0, -v7
	;; [unrolled: 1-line block ×3, first 2 shown]
	v_sub_f32_e32 v25, v66, v25
	v_fma_f32 v24, v47, 2.0, -v24
	v_sub_f32_e32 v47, v23, v0
	v_sub_f32_e32 v29, v26, v25
	v_fma_f32 v25, v66, 2.0, -v25
	v_fma_f32 v65, v23, 2.0, -v47
	v_mul_u32_u24_e32 v23, 3, v58
	v_fma_f32 v52, v28, 2.0, -v54
	v_fma_f32 v28, v48, 2.0, -v64
	v_sub_f32_e32 v48, v24, v25
	v_lshlrev_b32_e32 v51, 3, v23
	v_fma_f32 v49, v26, 2.0, -v29
	v_fma_f32 v66, v24, 2.0, -v48
	global_load_dwordx2 v[67:68], v51, s[8:9] offset:2704
	global_load_dwordx4 v[23:26], v51, s[8:9] offset:2688
	s_waitcnt vmcnt(6)
	v_mul_f32_e32 v0, v22, v74
	v_mul_f32_e32 v7, v42, v72
	v_mul_f32_e32 v51, v44, v86
	v_fmac_f32_e32 v0, v46, v73
	v_fma_f32 v7, v18, v71, -v7
	v_fma_f32 v51, v20, v85, -v51
	v_mul_f32_e32 v18, v18, v72
	v_mul_f32_e32 v20, v20, v86
	v_sub_f32_e32 v0, v40, v0
	v_sub_f32_e32 v51, v7, v51
	v_fmac_f32_e32 v18, v42, v71
	v_fmac_f32_e32 v20, v44, v85
	v_add_f32_e32 v70, v0, v51
	v_mul_f32_e32 v46, v46, v74
	v_sub_f32_e32 v20, v18, v20
	v_fma_f32 v84, v0, 2.0, -v70
	v_fma_f32 v22, v22, v73, -v46
	v_fma_f32 v0, v40, 2.0, -v0
	v_fma_f32 v18, v18, 2.0, -v20
	v_sub_f32_e32 v22, v16, v22
	v_sub_f32_e32 v72, v0, v18
	v_fma_f32 v74, v0, 2.0, -v72
	v_fma_f32 v0, v16, 2.0, -v22
	;; [unrolled: 1-line block ×3, first 2 shown]
	v_sub_f32_e32 v71, v0, v7
	s_waitcnt vmcnt(4)
	v_mul_f32_e32 v7, v41, v76
	v_mul_f32_e32 v16, v43, v93
	v_fma_f32 v7, v17, v75, -v7
	v_fma_f32 v16, v19, v92, -v16
	v_sub_f32_e32 v40, v7, v16
	v_mul_f32_e32 v16, v45, v78
	v_fma_f32 v73, v0, 2.0, -v71
	v_mul_f32_e32 v0, v21, v78
	v_fma_f32 v16, v21, v77, -v16
	v_fmac_f32_e32 v0, v45, v77
	v_sub_f32_e32 v21, v15, v16
	v_mul_f32_e32 v16, v17, v76
	v_mul_f32_e32 v17, v19, v93
	v_sub_f32_e32 v69, v22, v20
	v_sub_f32_e32 v0, v39, v0
	v_fmac_f32_e32 v16, v41, v75
	v_fmac_f32_e32 v17, v43, v92
	v_fma_f32 v83, v22, 2.0, -v69
	v_add_f32_e32 v18, v0, v40
	v_sub_f32_e32 v22, v16, v17
	v_fma_f32 v20, v0, 2.0, -v18
	v_fma_f32 v0, v39, 2.0, -v0
	;; [unrolled: 1-line block ×3, first 2 shown]
	v_sub_f32_e32 v16, v0, v16
	v_sub_f32_e32 v17, v21, v22
	v_fma_f32 v22, v0, 2.0, -v16
	v_fma_f32 v0, v15, 2.0, -v21
	;; [unrolled: 1-line block ×3, first 2 shown]
	v_sub_f32_e32 v15, v0, v7
	v_fma_f32 v19, v21, 2.0, -v17
	v_fma_f32 v21, v0, 2.0, -v15
	s_waitcnt vmcnt(2)
	v_mul_f32_e32 v0, v14, v82
	v_mul_f32_e32 v7, v36, v80
	;; [unrolled: 1-line block ×3, first 2 shown]
	v_fmac_f32_e32 v0, v38, v81
	v_fma_f32 v7, v10, v79, -v7
	v_fma_f32 v39, v12, v96, -v39
	v_mul_f32_e32 v10, v10, v80
	v_mul_f32_e32 v12, v12, v97
	v_sub_f32_e32 v0, v32, v0
	v_sub_f32_e32 v42, v7, v39
	v_fmac_f32_e32 v10, v36, v79
	v_fmac_f32_e32 v12, v34, v96
	v_add_f32_e32 v39, v0, v42
	v_mul_f32_e32 v38, v38, v82
	v_sub_f32_e32 v12, v10, v12
	v_fma_f32 v41, v0, 2.0, -v39
	v_fma_f32 v14, v14, v81, -v38
	v_fma_f32 v0, v32, 2.0, -v0
	v_fma_f32 v10, v10, 2.0, -v12
	v_sub_f32_e32 v14, v6, v14
	v_sub_f32_e32 v43, v0, v10
	v_fma_f32 v45, v0, 2.0, -v43
	v_fma_f32 v0, v6, 2.0, -v14
	v_fma_f32 v6, v7, 2.0, -v42
	v_sub_f32_e32 v42, v0, v6
	s_waitcnt vmcnt(0)
	v_mul_f32_e32 v6, v35, v24
	v_fma_f32 v32, v9, v23, -v6
	v_mul_f32_e32 v6, v33, v68
	v_fma_f32 v6, v11, v67, -v6
	v_sub_f32_e32 v34, v32, v6
	v_mul_f32_e32 v6, v37, v26
	v_fma_f32 v44, v0, 2.0, -v42
	v_mul_f32_e32 v0, v13, v26
	v_fma_f32 v6, v13, v25, -v6
	v_sub_f32_e32 v38, v14, v12
	v_fmac_f32_e32 v0, v37, v25
	v_sub_f32_e32 v13, v5, v6
	v_mul_f32_e32 v12, v9, v24
	v_mul_f32_e32 v6, v11, v68
	v_sub_f32_e32 v0, v31, v0
	v_fmac_f32_e32 v12, v35, v23
	v_fmac_f32_e32 v6, v33, v67
	v_add_f32_e32 v7, v0, v34
	v_sub_f32_e32 v11, v12, v6
	v_fma_f32 v10, v0, 2.0, -v7
	v_sub_f32_e32 v6, v13, v11
	v_fma_f32 v0, v31, 2.0, -v0
	v_fma_f32 v11, v12, 2.0, -v11
	v_sub_f32_e32 v12, v0, v11
	v_fma_f32 v40, v14, 2.0, -v38
	v_fma_f32 v14, v0, 2.0, -v12
	;; [unrolled: 1-line block ×3, first 2 shown]
	v_mul_hi_u32 v5, v58, s1
	v_fma_f32 v11, v32, 2.0, -v34
	v_sub_f32_e32 v11, v0, v11
	v_fma_f32 v9, v13, 2.0, -v6
	v_fma_f32 v13, v0, 2.0, -v11
	v_lshrrev_b32_e32 v0, 7, v5
	v_mul_u32_u24_e32 v0, 0x152, v0
	v_sub_u32_e32 v5, v58, v0
	v_mov_b32_e32 v0, s15
	v_addc_co_u32_e32 v4, vcc, v0, v4, vcc
	v_lshlrev_b64 v[0:1], 3, v[1:2]
	v_add_co_u32_e32 v2, vcc, v3, v0
	v_addc_co_u32_e32 v3, vcc, v4, v1, vcc
	v_lshlrev_b32_e32 v0, 3, v5
	v_add_u32_e32 v4, 52, v58
	v_add_co_u32_e32 v0, vcc, v2, v0
	v_mul_hi_u32 v5, v4, s1
	v_addc_co_u32_e32 v1, vcc, 0, v3, vcc
	global_store_dwordx2 v[0:1], v[13:14], off
	global_store_dwordx2 v[0:1], v[9:10], off offset:2704
	v_add_co_u32_e32 v0, vcc, s2, v0
	v_addc_co_u32_e32 v1, vcc, 0, v1, vcc
	global_store_dwordx2 v[0:1], v[11:12], off offset:1312
	global_store_dwordx2 v[0:1], v[6:7], off offset:4016
	v_lshrrev_b32_e32 v0, 7, v5
	v_mul_u32_u24_e32 v1, 0x152, v0
	v_sub_u32_e32 v1, v4, v1
	s_movk_i32 s2, 0x548
	v_mad_u32_u24 v7, v0, s2, v1
	v_lshlrev_b64 v[0:1], 3, v[7:8]
	v_add_u32_e32 v4, 0x68, v58
	v_add_co_u32_e32 v0, vcc, v2, v0
	v_addc_co_u32_e32 v1, vcc, v3, v1, vcc
	global_store_dwordx2 v[0:1], v[44:45], off
	v_add_u32_e32 v0, 0x152, v7
	v_mov_b32_e32 v1, v8
	v_lshlrev_b64 v[0:1], 3, v[0:1]
	v_mul_hi_u32 v5, v4, s1
	v_add_co_u32_e32 v0, vcc, v2, v0
	v_addc_co_u32_e32 v1, vcc, v3, v1, vcc
	global_store_dwordx2 v[0:1], v[40:41], off
	v_add_u32_e32 v0, 0x2a4, v7
	v_mov_b32_e32 v1, v8
	v_lshlrev_b64 v[0:1], 3, v[0:1]
	v_add_u32_e32 v7, 0x3f6, v7
	v_add_co_u32_e32 v0, vcc, v2, v0
	v_addc_co_u32_e32 v1, vcc, v3, v1, vcc
	global_store_dwordx2 v[0:1], v[42:43], off
	v_lshlrev_b64 v[0:1], 3, v[7:8]
	v_add_co_u32_e32 v0, vcc, v2, v0
	v_addc_co_u32_e32 v1, vcc, v3, v1, vcc
	global_store_dwordx2 v[0:1], v[38:39], off
	v_lshrrev_b32_e32 v0, 7, v5
	v_mul_u32_u24_e32 v1, 0x152, v0
	v_sub_u32_e32 v1, v4, v1
	v_mad_u32_u24 v7, v0, s2, v1
	v_lshlrev_b64 v[0:1], 3, v[7:8]
	v_add_u32_e32 v4, 0x9c, v58
	v_add_co_u32_e32 v0, vcc, v2, v0
	v_addc_co_u32_e32 v1, vcc, v3, v1, vcc
	global_store_dwordx2 v[0:1], v[21:22], off
	v_add_u32_e32 v0, 0x152, v7
	v_mov_b32_e32 v1, v8
	v_lshlrev_b64 v[0:1], 3, v[0:1]
	v_mul_hi_u32 v5, v4, s1
	v_add_co_u32_e32 v0, vcc, v2, v0
	v_addc_co_u32_e32 v1, vcc, v3, v1, vcc
	global_store_dwordx2 v[0:1], v[19:20], off
	v_add_u32_e32 v0, 0x2a4, v7
	v_mov_b32_e32 v1, v8
	v_lshlrev_b64 v[0:1], 3, v[0:1]
	v_add_u32_e32 v7, 0x3f6, v7
	v_add_co_u32_e32 v0, vcc, v2, v0
	v_addc_co_u32_e32 v1, vcc, v3, v1, vcc
	global_store_dwordx2 v[0:1], v[15:16], off
	v_lshlrev_b64 v[0:1], 3, v[7:8]
	v_add_co_u32_e32 v0, vcc, v2, v0
	v_addc_co_u32_e32 v1, vcc, v3, v1, vcc
	global_store_dwordx2 v[0:1], v[17:18], off
	v_lshrrev_b32_e32 v0, 7, v5
	v_mul_u32_u24_e32 v1, 0x152, v0
	v_sub_u32_e32 v1, v4, v1
	;; [unrolled: 27-line block ×4, first 2 shown]
	v_mad_u32_u24 v7, v0, s2, v1
	v_lshlrev_b64 v[0:1], 3, v[7:8]
	v_add_co_u32_e32 v0, vcc, v2, v0
	v_addc_co_u32_e32 v1, vcc, v3, v1, vcc
	global_store_dwordx2 v[0:1], v[27:28], off
	v_add_u32_e32 v0, 0x152, v7
	v_mov_b32_e32 v1, v8
	v_lshlrev_b64 v[0:1], 3, v[0:1]
	v_add_co_u32_e32 v0, vcc, v2, v0
	v_addc_co_u32_e32 v1, vcc, v3, v1, vcc
	global_store_dwordx2 v[0:1], v[52:53], off
	v_add_u32_e32 v0, 0x2a4, v7
	v_mov_b32_e32 v1, v8
	v_lshlrev_b64 v[0:1], 3, v[0:1]
	v_add_u32_e32 v7, 0x3f6, v7
	v_add_co_u32_e32 v0, vcc, v2, v0
	v_addc_co_u32_e32 v1, vcc, v3, v1, vcc
	global_store_dwordx2 v[0:1], v[63:64], off
	v_lshlrev_b64 v[0:1], 3, v[7:8]
	v_add_co_u32_e32 v0, vcc, v2, v0
	v_addc_co_u32_e32 v1, vcc, v3, v1, vcc
	global_store_dwordx2 v[0:1], v[54:55], off
	v_add_u32_e32 v0, 0x138, v58
	v_cmp_gt_u32_e32 vcc, s0, v0
	s_and_b64 exec, exec, vcc
	s_cbranch_execz .LBB0_20
; %bb.19:
	v_mul_i32_i24_e32 v7, 3, v59
	v_lshlrev_b64 v[4:5], 3, v[7:8]
	v_mov_b32_e32 v1, s9
	v_add_co_u32_e32 v4, vcc, s8, v4
	v_addc_co_u32_e32 v5, vcc, v1, v5, vcc
	global_load_dwordx4 v[9:12], v[4:5], off offset:2688
	global_load_dwordx2 v[13:14], v[4:5], off offset:2704
	v_mov_b32_e32 v1, v8
	v_lshlrev_b64 v[0:1], 3, v[0:1]
	v_add_u32_e32 v7, 0x28a, v58
	v_lshlrev_b64 v[4:5], 3, v[7:8]
	v_add_co_u32_e32 v0, vcc, v2, v0
	v_add_u32_e32 v7, 0x3dc, v58
	v_addc_co_u32_e32 v1, vcc, v3, v1, vcc
	v_lshlrev_b64 v[15:16], 3, v[7:8]
	v_add_co_u32_e32 v4, vcc, v2, v4
	v_add_u32_e32 v7, 0x52e, v58
	v_addc_co_u32_e32 v5, vcc, v3, v5, vcc
	v_lshlrev_b64 v[6:7], 3, v[7:8]
	v_add_co_u32_e32 v15, vcc, v2, v15
	v_addc_co_u32_e32 v16, vcc, v3, v16, vcc
	v_add_co_u32_e32 v2, vcc, v2, v6
	v_addc_co_u32_e32 v3, vcc, v3, v7, vcc
	s_waitcnt vmcnt(1)
	v_mul_f32_e32 v6, v61, v10
	v_mul_f32_e32 v7, v89, v10
	;; [unrolled: 1-line block ×4, first 2 shown]
	s_waitcnt vmcnt(0)
	v_mul_f32_e32 v12, v62, v14
	v_mul_f32_e32 v14, v91, v14
	v_fma_f32 v6, v89, v9, -v6
	v_fmac_f32_e32 v7, v61, v9
	v_fma_f32 v8, v90, v11, -v8
	v_fmac_f32_e32 v10, v57, v11
	;; [unrolled: 2-line block ×3, first 2 shown]
	v_sub_f32_e32 v11, v88, v8
	v_sub_f32_e32 v12, v60, v10
	;; [unrolled: 1-line block ×4, first 2 shown]
	v_fma_f32 v13, v88, 2.0, -v11
	v_fma_f32 v14, v60, 2.0, -v12
	;; [unrolled: 1-line block ×4, first 2 shown]
	v_sub_f32_e32 v6, v11, v9
	v_add_f32_e32 v7, v12, v8
	v_sub_f32_e32 v8, v13, v10
	v_sub_f32_e32 v9, v14, v17
	v_fma_f32 v10, v11, 2.0, -v6
	v_fma_f32 v11, v12, 2.0, -v7
	;; [unrolled: 1-line block ×4, first 2 shown]
	global_store_dwordx2 v[4:5], v[10:11], off
	global_store_dwordx2 v[15:16], v[8:9], off
	;; [unrolled: 1-line block ×4, first 2 shown]
.LBB0_20:
	s_endpgm
	.section	.rodata,"a",@progbits
	.p2align	6, 0x0
	.amdhsa_kernel fft_rtc_fwd_len1352_factors_2_13_13_4_wgs_52_tpt_52_halfLds_sp_op_CI_CI_unitstride_sbrr_dirReg
		.amdhsa_group_segment_fixed_size 0
		.amdhsa_private_segment_fixed_size 0
		.amdhsa_kernarg_size 104
		.amdhsa_user_sgpr_count 6
		.amdhsa_user_sgpr_private_segment_buffer 1
		.amdhsa_user_sgpr_dispatch_ptr 0
		.amdhsa_user_sgpr_queue_ptr 0
		.amdhsa_user_sgpr_kernarg_segment_ptr 1
		.amdhsa_user_sgpr_dispatch_id 0
		.amdhsa_user_sgpr_flat_scratch_init 0
		.amdhsa_user_sgpr_private_segment_size 0
		.amdhsa_uses_dynamic_stack 0
		.amdhsa_system_sgpr_private_segment_wavefront_offset 0
		.amdhsa_system_sgpr_workgroup_id_x 1
		.amdhsa_system_sgpr_workgroup_id_y 0
		.amdhsa_system_sgpr_workgroup_id_z 0
		.amdhsa_system_sgpr_workgroup_info 0
		.amdhsa_system_vgpr_workitem_id 0
		.amdhsa_next_free_vgpr 119
		.amdhsa_next_free_sgpr 28
		.amdhsa_reserve_vcc 1
		.amdhsa_reserve_flat_scratch 0
		.amdhsa_float_round_mode_32 0
		.amdhsa_float_round_mode_16_64 0
		.amdhsa_float_denorm_mode_32 3
		.amdhsa_float_denorm_mode_16_64 3
		.amdhsa_dx10_clamp 1
		.amdhsa_ieee_mode 1
		.amdhsa_fp16_overflow 0
		.amdhsa_exception_fp_ieee_invalid_op 0
		.amdhsa_exception_fp_denorm_src 0
		.amdhsa_exception_fp_ieee_div_zero 0
		.amdhsa_exception_fp_ieee_overflow 0
		.amdhsa_exception_fp_ieee_underflow 0
		.amdhsa_exception_fp_ieee_inexact 0
		.amdhsa_exception_int_div_zero 0
	.end_amdhsa_kernel
	.text
.Lfunc_end0:
	.size	fft_rtc_fwd_len1352_factors_2_13_13_4_wgs_52_tpt_52_halfLds_sp_op_CI_CI_unitstride_sbrr_dirReg, .Lfunc_end0-fft_rtc_fwd_len1352_factors_2_13_13_4_wgs_52_tpt_52_halfLds_sp_op_CI_CI_unitstride_sbrr_dirReg
                                        ; -- End function
	.section	.AMDGPU.csdata,"",@progbits
; Kernel info:
; codeLenInByte = 18196
; NumSgprs: 32
; NumVgprs: 119
; ScratchSize: 0
; MemoryBound: 0
; FloatMode: 240
; IeeeMode: 1
; LDSByteSize: 0 bytes/workgroup (compile time only)
; SGPRBlocks: 3
; VGPRBlocks: 29
; NumSGPRsForWavesPerEU: 32
; NumVGPRsForWavesPerEU: 119
; Occupancy: 2
; WaveLimiterHint : 1
; COMPUTE_PGM_RSRC2:SCRATCH_EN: 0
; COMPUTE_PGM_RSRC2:USER_SGPR: 6
; COMPUTE_PGM_RSRC2:TRAP_HANDLER: 0
; COMPUTE_PGM_RSRC2:TGID_X_EN: 1
; COMPUTE_PGM_RSRC2:TGID_Y_EN: 0
; COMPUTE_PGM_RSRC2:TGID_Z_EN: 0
; COMPUTE_PGM_RSRC2:TIDIG_COMP_CNT: 0
	.type	__hip_cuid_8a358ab6e0e9fd89,@object ; @__hip_cuid_8a358ab6e0e9fd89
	.section	.bss,"aw",@nobits
	.globl	__hip_cuid_8a358ab6e0e9fd89
__hip_cuid_8a358ab6e0e9fd89:
	.byte	0                               ; 0x0
	.size	__hip_cuid_8a358ab6e0e9fd89, 1

	.ident	"AMD clang version 19.0.0git (https://github.com/RadeonOpenCompute/llvm-project roc-6.4.0 25133 c7fe45cf4b819c5991fe208aaa96edf142730f1d)"
	.section	".note.GNU-stack","",@progbits
	.addrsig
	.addrsig_sym __hip_cuid_8a358ab6e0e9fd89
	.amdgpu_metadata
---
amdhsa.kernels:
  - .args:
      - .actual_access:  read_only
        .address_space:  global
        .offset:         0
        .size:           8
        .value_kind:     global_buffer
      - .offset:         8
        .size:           8
        .value_kind:     by_value
      - .actual_access:  read_only
        .address_space:  global
        .offset:         16
        .size:           8
        .value_kind:     global_buffer
      - .actual_access:  read_only
        .address_space:  global
        .offset:         24
        .size:           8
        .value_kind:     global_buffer
      - .actual_access:  read_only
        .address_space:  global
        .offset:         32
        .size:           8
        .value_kind:     global_buffer
      - .offset:         40
        .size:           8
        .value_kind:     by_value
      - .actual_access:  read_only
        .address_space:  global
        .offset:         48
        .size:           8
        .value_kind:     global_buffer
      - .actual_access:  read_only
        .address_space:  global
        .offset:         56
        .size:           8
        .value_kind:     global_buffer
      - .offset:         64
        .size:           4
        .value_kind:     by_value
      - .actual_access:  read_only
        .address_space:  global
        .offset:         72
        .size:           8
        .value_kind:     global_buffer
      - .actual_access:  read_only
        .address_space:  global
        .offset:         80
        .size:           8
        .value_kind:     global_buffer
      - .actual_access:  read_only
        .address_space:  global
        .offset:         88
        .size:           8
        .value_kind:     global_buffer
      - .actual_access:  write_only
        .address_space:  global
        .offset:         96
        .size:           8
        .value_kind:     global_buffer
    .group_segment_fixed_size: 0
    .kernarg_segment_align: 8
    .kernarg_segment_size: 104
    .language:       OpenCL C
    .language_version:
      - 2
      - 0
    .max_flat_workgroup_size: 52
    .name:           fft_rtc_fwd_len1352_factors_2_13_13_4_wgs_52_tpt_52_halfLds_sp_op_CI_CI_unitstride_sbrr_dirReg
    .private_segment_fixed_size: 0
    .sgpr_count:     32
    .sgpr_spill_count: 0
    .symbol:         fft_rtc_fwd_len1352_factors_2_13_13_4_wgs_52_tpt_52_halfLds_sp_op_CI_CI_unitstride_sbrr_dirReg.kd
    .uniform_work_group_size: 1
    .uses_dynamic_stack: false
    .vgpr_count:     119
    .vgpr_spill_count: 0
    .wavefront_size: 64
amdhsa.target:   amdgcn-amd-amdhsa--gfx906
amdhsa.version:
  - 1
  - 2
...

	.end_amdgpu_metadata
